;; amdgpu-corpus repo=ROCm/rocFFT kind=compiled arch=gfx1201 opt=O3
	.text
	.amdgcn_target "amdgcn-amd-amdhsa--gfx1201"
	.amdhsa_code_object_version 6
	.protected	bluestein_single_fwd_len728_dim1_sp_op_CI_CI ; -- Begin function bluestein_single_fwd_len728_dim1_sp_op_CI_CI
	.globl	bluestein_single_fwd_len728_dim1_sp_op_CI_CI
	.p2align	8
	.type	bluestein_single_fwd_len728_dim1_sp_op_CI_CI,@function
bluestein_single_fwd_len728_dim1_sp_op_CI_CI: ; @bluestein_single_fwd_len728_dim1_sp_op_CI_CI
; %bb.0:
	s_load_b128 s[8:11], s[0:1], 0x28
	v_mul_u32_u24_e32 v1, 0x277, v0
	s_mov_b32 s2, exec_lo
	v_mov_b32_e32 v51, 0
	s_delay_alu instid0(VALU_DEP_2) | instskip(NEXT) | instid1(VALU_DEP_1)
	v_lshrrev_b32_e32 v1, 16, v1
	v_add_nc_u32_e32 v50, ttmp9, v1
	s_wait_kmcnt 0x0
	s_delay_alu instid0(VALU_DEP_1)
	v_cmpx_gt_u64_e64 s[8:9], v[50:51]
	s_cbranch_execz .LBB0_23
; %bb.1:
	v_mul_lo_u16 v1, 0x68, v1
	s_clause 0x1
	s_load_b64 s[12:13], s[0:1], 0x0
	s_load_b64 s[8:9], s[0:1], 0x38
	s_delay_alu instid0(VALU_DEP_1) | instskip(NEXT) | instid1(VALU_DEP_1)
	v_sub_nc_u16 v0, v0, v1
	v_and_b32_e32 v61, 0xffff, v0
	v_cmp_gt_u16_e32 vcc_lo, 56, v0
	s_delay_alu instid0(VALU_DEP_2)
	v_lshlrev_b32_e32 v60, 3, v61
	v_or_b32_e32 v59, 0x1c0, v61
	s_and_saveexec_b32 s3, vcc_lo
	s_cbranch_execz .LBB0_3
; %bb.2:
	s_load_b64 s[4:5], s[0:1], 0x18
	v_add_nc_u32_e32 v58, 0x1000, v60
	s_wait_kmcnt 0x0
	s_load_b128 s[4:7], s[4:5], 0x0
	s_clause 0x1
	global_load_b64 v[11:12], v60, s[12:13]
	global_load_b64 v[13:14], v60, s[12:13] offset:448
	s_wait_kmcnt 0x0
	v_mad_co_u64_u32 v[0:1], null, s6, v50, 0
	v_mad_co_u64_u32 v[2:3], null, s4, v61, 0
	s_delay_alu instid0(VALU_DEP_1) | instskip(SKIP_1) | instid1(VALU_DEP_1)
	v_mad_co_u64_u32 v[4:5], null, s7, v50, v[1:2]
	s_mul_u64 s[6:7], s[4:5], 0x1c0
	v_mad_co_u64_u32 v[5:6], null, s5, v61, v[3:4]
	v_mov_b32_e32 v1, v4
	s_delay_alu instid0(VALU_DEP_1) | instskip(NEXT) | instid1(VALU_DEP_3)
	v_lshlrev_b64_e32 v[0:1], 3, v[0:1]
	v_mov_b32_e32 v3, v5
	s_delay_alu instid0(VALU_DEP_1) | instskip(NEXT) | instid1(VALU_DEP_3)
	v_lshlrev_b64_e32 v[2:3], 3, v[2:3]
	v_add_co_u32 v21, s2, s10, v0
	s_delay_alu instid0(VALU_DEP_1) | instskip(SKIP_1) | instid1(VALU_DEP_3)
	v_add_co_ci_u32_e64 v22, s2, s11, v1, s2
	v_mad_co_u64_u32 v[0:1], null, s4, v59, 0
	v_add_co_u32 v2, s2, v21, v2
	s_wait_alu 0xf1ff
	s_delay_alu instid0(VALU_DEP_3) | instskip(SKIP_1) | instid1(VALU_DEP_2)
	v_add_co_ci_u32_e64 v3, s2, v22, v3, s2
	s_wait_alu 0xfffe
	v_add_co_u32 v4, s2, v2, s6
	s_wait_alu 0xf1ff
	s_delay_alu instid0(VALU_DEP_2) | instskip(SKIP_1) | instid1(VALU_DEP_3)
	v_add_co_ci_u32_e64 v5, s2, s7, v3, s2
	v_mad_co_u64_u32 v[8:9], null, s5, v59, v[1:2]
	v_add_co_u32 v6, s2, v4, s6
	s_wait_alu 0xf1ff
	s_delay_alu instid0(VALU_DEP_3) | instskip(NEXT) | instid1(VALU_DEP_2)
	v_add_co_ci_u32_e64 v7, s2, s7, v5, s2
	v_add_co_u32 v9, s2, v6, s6
	s_wait_alu 0xf1ff
	s_delay_alu instid0(VALU_DEP_2) | instskip(SKIP_1) | instid1(VALU_DEP_3)
	v_add_co_ci_u32_e64 v10, s2, s7, v7, s2
	v_mov_b32_e32 v1, v8
	v_add_co_u32 v15, s2, v9, s6
	s_wait_alu 0xf1ff
	s_delay_alu instid0(VALU_DEP_3) | instskip(NEXT) | instid1(VALU_DEP_3)
	v_add_co_ci_u32_e64 v16, s2, s7, v10, s2
	v_lshlrev_b64_e32 v[0:1], 3, v[0:1]
	s_delay_alu instid0(VALU_DEP_3) | instskip(SKIP_1) | instid1(VALU_DEP_3)
	v_add_co_u32 v17, s2, v15, s6
	s_wait_alu 0xf1ff
	v_add_co_ci_u32_e64 v18, s2, s7, v16, s2
	s_delay_alu instid0(VALU_DEP_2) | instskip(SKIP_1) | instid1(VALU_DEP_2)
	v_add_co_u32 v19, s2, v17, s6
	s_wait_alu 0xf1ff
	v_add_co_ci_u32_e64 v20, s2, s7, v18, s2
	v_add_co_u32 v0, s2, v21, v0
	s_wait_alu 0xf1ff
	v_add_co_ci_u32_e64 v1, s2, v22, v1, s2
	;; [unrolled: 3-line block ×3, first 2 shown]
	global_load_b64 v[2:3], v[2:3], off
	global_load_b64 v[23:24], v60, s[12:13] offset:3584
	s_clause 0x2
	global_load_b64 v[0:1], v[0:1], off
	global_load_b64 v[4:5], v[4:5], off
	global_load_b64 v[6:7], v[6:7], off
	s_clause 0x1
	global_load_b64 v[27:28], v60, s[12:13] offset:896
	global_load_b64 v[29:30], v60, s[12:13] offset:1344
	s_clause 0x1
	global_load_b64 v[8:9], v[9:10], off
	global_load_b64 v[15:16], v[15:16], off
	v_mad_co_u64_u32 v[25:26], null, 0x380, s4, v[21:22]
	s_delay_alu instid0(VALU_DEP_1) | instskip(NEXT) | instid1(VALU_DEP_2)
	v_mov_b32_e32 v10, v26
	v_add_co_u32 v44, s2, v25, s6
	s_wait_loadcnt 0xa
	s_delay_alu instid0(VALU_DEP_2)
	v_mad_co_u64_u32 v[31:32], null, 0x380, s5, v[10:11]
	s_clause 0x5
	global_load_b64 v[32:33], v60, s[12:13] offset:1792
	global_load_b64 v[34:35], v60, s[12:13] offset:2240
	;; [unrolled: 1-line block ×6, first 2 shown]
	global_load_b64 v[17:18], v[17:18], off
	global_load_b64 v[19:20], v[19:20], off
	;; [unrolled: 1-line block ×3, first 2 shown]
	v_mov_b32_e32 v26, v31
	s_wait_alu 0xf1ff
	s_delay_alu instid0(VALU_DEP_1)
	v_add_co_ci_u32_e64 v45, s2, s7, v26, s2
	v_add_co_u32 v46, s2, v44, s6
	global_load_b64 v[25:26], v[25:26], off
	s_wait_alu 0xf1ff
	v_add_co_ci_u32_e64 v47, s2, s7, v45, s2
	global_load_b64 v[44:45], v[44:45], off
	v_add_co_u32 v48, s2, v46, s6
	s_wait_alu 0xf1ff
	v_add_co_ci_u32_e64 v49, s2, s7, v47, s2
	global_load_b64 v[51:52], v60, s[12:13] offset:4928
	global_load_b64 v[46:47], v[46:47], off
	global_load_b64 v[53:54], v60, s[12:13] offset:5376
	global_load_b64 v[48:49], v[48:49], off
	s_wait_loadcnt 0x17
	v_mul_f32_e32 v10, v3, v12
	s_wait_loadcnt 0x14
	v_dual_mul_f32 v56, v2, v12 :: v_dual_mul_f32 v55, v5, v14
	s_delay_alu instid0(VALU_DEP_2) | instskip(SKIP_1) | instid1(VALU_DEP_3)
	v_dual_fmac_f32 v10, v2, v11 :: v_dual_add_nc_u32 v31, 0x400, v60
	v_mul_f32_e32 v12, v1, v24
	v_fma_f32 v11, v3, v11, -v56
	s_delay_alu instid0(VALU_DEP_4) | instskip(SKIP_1) | instid1(VALU_DEP_4)
	v_fmac_f32_e32 v55, v4, v13
	v_mul_f32_e32 v3, v4, v14
	v_dual_fmac_f32 v12, v0, v23 :: v_dual_add_nc_u32 v57, 0x800, v60
	v_mul_f32_e32 v24, v0, v24
	s_wait_loadcnt 0x12
	v_mul_f32_e32 v2, v7, v28
	v_mul_f32_e32 v0, v6, v28
	s_wait_loadcnt 0x10
	v_mul_f32_e32 v4, v9, v30
	v_mul_f32_e32 v14, v8, v30
	v_fma_f32 v56, v5, v13, -v3
	v_fmac_f32_e32 v2, v6, v27
	v_fma_f32 v3, v7, v27, -v0
	v_fma_f32 v13, v1, v23, -v24
	ds_store_2addr_b64 v60, v[10:11], v[55:56] offset1:56
	s_wait_loadcnt 0xe
	v_mul_f32_e32 v0, v16, v33
	v_mul_f32_e32 v1, v15, v33
	s_delay_alu instid0(VALU_DEP_2) | instskip(NEXT) | instid1(VALU_DEP_2)
	v_fmac_f32_e32 v0, v15, v32
	v_fma_f32 v1, v16, v32, -v1
	s_wait_loadcnt 0x6
	v_mul_f32_e32 v7, v21, v39
	v_fma_f32 v5, v9, v29, -v14
	v_mul_f32_e32 v6, v22, v39
	s_delay_alu instid0(VALU_DEP_3) | instskip(NEXT) | instid1(VALU_DEP_2)
	v_fma_f32 v7, v22, v38, -v7
	v_fmac_f32_e32 v6, v21, v38
	s_wait_loadcnt 0x5
	v_mul_f32_e32 v9, v25, v41
	s_wait_loadcnt 0x4
	v_mul_f32_e32 v11, v44, v43
	v_fmac_f32_e32 v4, v8, v29
	v_mul_f32_e32 v8, v26, v41
	s_wait_loadcnt 0x2
	v_dual_mul_f32 v15, v46, v52 :: v_dual_mul_f32 v10, v45, v43
	v_mul_f32_e32 v14, v47, v52
	ds_store_2addr_b64 v60, v[2:3], v[4:5] offset0:112 offset1:168
	v_mul_f32_e32 v2, v18, v35
	v_dual_mul_f32 v3, v17, v35 :: v_dual_mul_f32 v4, v20, v37
	s_wait_loadcnt 0x0
	v_dual_mul_f32 v5, v19, v37 :: v_dual_mul_f32 v16, v49, v54
	s_delay_alu instid0(VALU_DEP_3)
	v_fmac_f32_e32 v2, v17, v34
	v_mul_f32_e32 v17, v48, v54
	v_fma_f32 v3, v18, v34, -v3
	v_fmac_f32_e32 v4, v19, v36
	v_fma_f32 v5, v20, v36, -v5
	v_fmac_f32_e32 v8, v25, v40
	;; [unrolled: 2-line block ×5, first 2 shown]
	v_fma_f32 v17, v49, v53, -v17
	ds_store_2addr_b64 v31, v[0:1], v[2:3] offset0:96 offset1:152
	ds_store_2addr_b64 v57, v[4:5], v[6:7] offset0:80 offset1:136
	;; [unrolled: 1-line block ×4, first 2 shown]
	ds_store_b64 v60, v[16:17] offset:5376
.LBB0_3:
	s_or_b32 exec_lo, exec_lo, s3
	s_clause 0x1
	s_load_b64 s[4:5], s[0:1], 0x20
	s_load_b64 s[2:3], s[0:1], 0x8
	v_mov_b32_e32 v8, 0
	v_mov_b32_e32 v9, 0
	global_wb scope:SCOPE_SE
	s_wait_dscnt 0x0
	s_wait_kmcnt 0x0
	s_barrier_signal -1
	s_barrier_wait -1
	global_inv scope:SCOPE_SE
                                        ; implicit-def: $vgpr22
                                        ; implicit-def: $vgpr16
                                        ; implicit-def: $vgpr12
                                        ; implicit-def: $vgpr32
                                        ; implicit-def: $vgpr26
                                        ; implicit-def: $vgpr30
	s_and_saveexec_b32 s0, vcc_lo
	s_cbranch_execz .LBB0_5
; %bb.4:
	v_add_nc_u32_e32 v0, 0x400, v60
	v_add_nc_u32_e32 v1, 0x800, v60
	;; [unrolled: 1-line block ×3, first 2 shown]
	ds_load_2addr_b64 v[8:11], v60 offset1:56
	ds_load_2addr_b64 v[28:31], v60 offset0:112 offset1:168
	ds_load_2addr_b64 v[24:27], v0 offset0:96 offset1:152
	;; [unrolled: 1-line block ×5, first 2 shown]
	ds_load_b64 v[32:33], v60 offset:5376
.LBB0_5:
	s_wait_alu 0xfffe
	s_or_b32 exec_lo, exec_lo, s0
	s_wait_dscnt 0x0
	v_dual_sub_f32 v4, v11, v33 :: v_dual_sub_f32 v5, v10, v32
	v_add_f32_e32 v72, v32, v10
	v_add_f32_e32 v80, v33, v11
	;; [unrolled: 1-line block ×3, first 2 shown]
	s_delay_alu instid0(VALU_DEP_4) | instskip(SKIP_3) | instid1(VALU_DEP_4)
	v_dual_mul_f32 v44, 0xbf7e222b, v4 :: v_dual_mul_f32 v49, 0xbf7e222b, v5
	v_mul_f32_e32 v37, 0xbeedf032, v5
	v_dual_mul_f32 v43, 0xbf52af12, v5 :: v_dual_add_f32 v82, v17, v27
	v_sub_f32_e32 v127, v20, v22
	v_fma_f32 v51, 0x3df6dbef, v80, -v49
	s_delay_alu instid0(VALU_DEP_4) | instskip(SKIP_3) | instid1(VALU_DEP_3)
	v_fma_f32 v1, 0x3f62ad3f, v80, -v37
	v_mul_f32_e32 v36, 0xbeedf032, v4
	v_fma_f32 v3, 0x3f116cb1, v80, -v43
	v_dual_sub_f32 v7, v29, v15 :: v_dual_mul_f32 v40, 0xbf52af12, v4
	v_dual_add_f32 v1, v1, v9 :: v_dual_fmamk_f32 v0, v72, 0x3f62ad3f, v36
	s_delay_alu instid0(VALU_DEP_2) | instskip(SKIP_1) | instid1(VALU_DEP_4)
	v_dual_add_f32 v3, v3, v9 :: v_dual_mul_f32 v38, 0xbf52af12, v7
	v_sub_f32_e32 v34, v28, v14
	v_dual_fmamk_f32 v2, v72, 0x3f116cb1, v40 :: v_dual_add_f32 v75, v15, v29
	v_mul_f32_e32 v45, 0xbf6f5d39, v7
	s_delay_alu instid0(VALU_DEP_4) | instskip(NEXT) | instid1(VALU_DEP_3)
	v_dual_fmamk_f32 v35, v74, 0x3f116cb1, v38 :: v_dual_add_f32 v0, v0, v8
	v_dual_mul_f32 v39, 0xbf52af12, v34 :: v_dual_add_f32 v2, v2, v8
	v_dual_mul_f32 v48, 0xbf6f5d39, v34 :: v_dual_add_f32 v77, v13, v31
	s_delay_alu instid0(VALU_DEP_3) | instskip(NEXT) | instid1(VALU_DEP_3)
	v_add_f32_e32 v0, v35, v0
	v_fma_f32 v41, 0x3f116cb1, v75, -v39
	v_dual_sub_f32 v35, v31, v13 :: v_dual_fmamk_f32 v6, v72, 0x3df6dbef, v44
	v_add_f32_e32 v76, v12, v30
	s_delay_alu instid0(VALU_DEP_3) | instskip(NEXT) | instid1(VALU_DEP_3)
	v_dual_fmamk_f32 v42, v74, 0xbeb58ec6, v45 :: v_dual_add_f32 v1, v41, v1
	v_mul_f32_e32 v41, 0xbf7e222b, v35
	v_dual_mul_f32 v67, 0x3f6f5d39, v35 :: v_dual_sub_f32 v62, v30, v12
	v_dual_add_f32 v6, v6, v8 :: v_dual_mul_f32 v57, 0xbe750f2a, v7
	v_fma_f32 v46, 0xbeb58ec6, v75, -v48
	s_delay_alu instid0(VALU_DEP_4) | instskip(NEXT) | instid1(VALU_DEP_4)
	v_fmamk_f32 v47, v76, 0x3df6dbef, v41
	v_mul_f32_e32 v55, 0xbe750f2a, v62
	v_dual_add_f32 v2, v42, v2 :: v_dual_mul_f32 v53, 0xbe750f2a, v35
	s_delay_alu instid0(VALU_DEP_4)
	v_add_f32_e32 v3, v46, v3
	v_dual_fmamk_f32 v46, v74, 0xbf788fa5, v57 :: v_dual_sub_f32 v115, v24, v18
	v_add_f32_e32 v0, v47, v0
	v_fma_f32 v56, 0xbf788fa5, v77, -v55
	v_mul_f32_e32 v42, 0xbf7e222b, v62
	v_dual_fmamk_f32 v54, v76, 0xbf788fa5, v53 :: v_dual_add_f32 v79, v19, v25
	v_dual_add_f32 v6, v46, v6 :: v_dual_mul_f32 v47, 0xbf6f5d39, v115
	s_delay_alu instid0(VALU_DEP_4) | instskip(NEXT) | instid1(VALU_DEP_4)
	v_add_f32_e32 v3, v56, v3
	v_fma_f32 v52, 0x3df6dbef, v77, -v42
	s_delay_alu instid0(VALU_DEP_4) | instskip(NEXT) | instid1(VALU_DEP_4)
	v_dual_add_f32 v2, v54, v2 :: v_dual_mul_f32 v65, 0x3f29c268, v115
	v_fma_f32 v56, 0xbeb58ec6, v79, -v47
	s_delay_alu instid0(VALU_DEP_3) | instskip(SKIP_1) | instid1(VALU_DEP_4)
	v_dual_mul_f32 v88, 0xbe750f2a, v34 :: v_dual_add_f32 v1, v52, v1
	v_add_f32_e32 v78, v18, v24
	v_fma_f32 v64, 0xbf3f9e67, v79, -v65
	v_sub_f32_e32 v117, v27, v17
	s_delay_alu instid0(VALU_DEP_4) | instskip(SKIP_1) | instid1(VALU_DEP_4)
	v_fma_f32 v81, 0xbf788fa5, v75, -v88
	v_dual_add_f32 v1, v56, v1 :: v_dual_sub_f32 v114, v25, v19
	v_dual_add_f32 v3, v64, v3 :: v_dual_sub_f32 v122, v26, v16
	v_dual_sub_f32 v123, v21, v23 :: v_dual_add_f32 v86, v23, v21
	s_delay_alu instid0(VALU_DEP_3)
	v_mul_f32_e32 v58, 0x3f29c268, v114
	v_add_f32_e32 v83, v16, v26
	v_mul_f32_e32 v71, 0xbf52af12, v117
	v_mul_f32_e32 v102, 0x3eedf032, v62
	;; [unrolled: 1-line block ×3, first 2 shown]
	v_fmamk_f32 v63, v78, 0xbf3f9e67, v58
	v_mul_f32_e32 v46, 0xbf6f5d39, v114
	v_mul_f32_e32 v69, 0x3f7e222b, v122
	v_dual_mul_f32 v70, 0x3eedf032, v114 :: v_dual_add_f32 v85, v22, v20
	s_delay_alu instid0(VALU_DEP_4) | instskip(NEXT) | instid1(VALU_DEP_4)
	v_add_f32_e32 v2, v63, v2
	v_fmamk_f32 v54, v78, 0xbeb58ec6, v46
	s_delay_alu instid0(VALU_DEP_4) | instskip(SKIP_2) | instid1(VALU_DEP_4)
	v_fma_f32 v68, 0x3df6dbef, v82, -v69
	v_fma_f32 v99, 0x3f62ad3f, v77, -v102
	v_fmamk_f32 v109, v76, 0x3f116cb1, v108
	v_dual_add_f32 v51, v51, v9 :: v_dual_add_f32 v0, v54, v0
	s_delay_alu instid0(VALU_DEP_4)
	v_dual_add_f32 v3, v68, v3 :: v_dual_mul_f32 v56, 0xbf29c268, v122
	v_mul_f32_e32 v54, 0xbf29c268, v117
	v_mul_f32_e32 v68, 0x3eedf032, v123
	;; [unrolled: 1-line block ×4, first 2 shown]
	v_fma_f32 v66, 0xbf3f9e67, v82, -v56
	v_fmamk_f32 v52, v76, 0xbeb58ec6, v67
	v_mul_f32_e32 v63, 0x3f7e222b, v117
	v_dual_add_f32 v87, v81, v51 :: v_dual_fmamk_f32 v64, v83, 0xbf3f9e67, v54
	s_delay_alu instid0(VALU_DEP_3) | instskip(SKIP_2) | instid1(VALU_DEP_4)
	v_dual_add_f32 v1, v66, v1 :: v_dual_add_f32 v6, v52, v6
	v_fmamk_f32 v52, v78, 0x3f62ad3f, v70
	v_mul_f32_e32 v73, 0x3eedf032, v127
	v_dual_mul_f32 v81, 0xbf29c268, v123 :: v_dual_add_f32 v0, v64, v0
	v_mul_f32_e32 v64, 0xbe750f2a, v123
	s_delay_alu instid0(VALU_DEP_4) | instskip(NEXT) | instid1(VALU_DEP_4)
	v_add_f32_e32 v6, v52, v6
	v_fma_f32 v92, 0x3f62ad3f, v86, -v73
	v_fmamk_f32 v52, v83, 0x3df6dbef, v63
	v_fma_f32 v93, 0xbeb58ec6, v77, -v89
	v_dual_mul_f32 v90, 0x3eedf032, v115 :: v_dual_mul_f32 v125, 0x3eedf032, v34
	s_delay_alu instid0(VALU_DEP_4) | instskip(NEXT) | instid1(VALU_DEP_4)
	v_add_f32_e32 v3, v92, v3
	v_add_f32_e32 v2, v52, v2
	v_fmamk_f32 v52, v83, 0x3f116cb1, v71
	v_mul_f32_e32 v126, 0xbf29c268, v62
	v_mul_f32_e32 v95, 0x3f29c268, v7
	v_fma_f32 v121, 0x3f62ad3f, v75, -v125
	v_mul_f32_e32 v112, 0x3f7e222b, v34
	v_add_f32_e32 v6, v52, v6
	v_fmamk_f32 v52, v85, 0xbf788fa5, v64
	v_mul_f32_e32 v101, 0x3f29c268, v34
	v_fma_f32 v131, 0xbf3f9e67, v77, -v126
	v_fma_f32 v116, 0x3df6dbef, v75, -v112
	s_delay_alu instid0(VALU_DEP_4)
	v_dual_fmamk_f32 v94, v74, 0xbf3f9e67, v95 :: v_dual_add_f32 v51, v52, v0
	v_add_f32_e32 v0, v93, v87
	v_fma_f32 v93, 0xbeb58ec6, v80, -v100
	v_mul_f32_e32 v66, 0xbe750f2a, v127
	v_fma_f32 v98, 0xbf3f9e67, v75, -v101
	v_mul_f32_e32 v124, 0xbe750f2a, v5
	v_mul_f32_e32 v87, 0xbf52af12, v122
	v_add_f32_e32 v97, v93, v9
	v_mul_f32_e32 v93, 0xbf7e222b, v114
	v_fma_f32 v84, 0xbf788fa5, v86, -v66
	v_mul_f32_e32 v110, 0xbf52af12, v62
	global_wb scope:SCOPE_SE
	v_dual_add_f32 v98, v98, v97 :: v_dual_mul_f32 v97, 0xbf7e222b, v115
	v_add_f32_e32 v52, v84, v1
	v_fma_f32 v1, 0x3f62ad3f, v79, -v90
	s_barrier_signal -1
	s_delay_alu instid0(VALU_DEP_3)
	v_add_f32_e32 v99, v99, v98
	v_fma_f32 v104, 0x3df6dbef, v79, -v97
	v_mul_f32_e32 v98, 0x3e750f2a, v122
	v_fmamk_f32 v91, v85, 0x3f62ad3f, v68
	v_add_f32_e32 v1, v1, v0
	v_fmamk_f32 v103, v78, 0x3df6dbef, v93
	v_add_f32_e32 v105, v104, v99
	v_fma_f32 v106, 0xbf788fa5, v82, -v98
	v_mul_f32_e32 v104, 0xbf29c268, v4
	v_fmamk_f32 v84, v85, 0xbf3f9e67, v81
	v_add_f32_e32 v2, v91, v2
	v_fma_f32 v91, 0x3f116cb1, v82, -v87
	v_dual_add_f32 v128, v106, v105 :: v_dual_mul_f32 v105, 0x3f7e222b, v7
	s_delay_alu instid0(VALU_DEP_4) | instskip(SKIP_1) | instid1(VALU_DEP_4)
	v_add_f32_e32 v0, v84, v6
	v_dual_mul_f32 v84, 0xbf29c268, v127 :: v_dual_mul_f32 v111, 0xbf29c268, v5
	v_add_f32_e32 v1, v91, v1
	s_delay_alu instid0(VALU_DEP_4)
	v_fmamk_f32 v107, v74, 0x3df6dbef, v105
	v_mul_f32_e32 v92, 0xbf6f5d39, v4
	v_mul_f32_e32 v91, 0x3eedf032, v35
	v_fma_f32 v96, 0xbf3f9e67, v86, -v84
	s_barrier_wait -1
	global_inv scope:SCOPE_SE
	v_fmamk_f32 v6, v72, 0xbeb58ec6, v92
	v_mul_f32_e32 v99, 0x3f52af12, v127
	v_dual_add_f32 v1, v96, v1 :: v_dual_mul_f32 v96, 0x3f52af12, v123
	s_delay_alu instid0(VALU_DEP_3) | instskip(NEXT) | instid1(VALU_DEP_3)
	v_add_f32_e32 v6, v6, v8
	v_fma_f32 v129, 0x3f116cb1, v86, -v99
	s_delay_alu instid0(VALU_DEP_3) | instskip(NEXT) | instid1(VALU_DEP_3)
	v_fmamk_f32 v106, v85, 0x3f116cb1, v96
	v_add_f32_e32 v6, v94, v6
	v_fmamk_f32 v94, v76, 0x3f62ad3f, v91
	s_delay_alu instid0(VALU_DEP_1) | instskip(SKIP_1) | instid1(VALU_DEP_2)
	v_add_f32_e32 v6, v94, v6
	v_mul_f32_e32 v94, 0x3e750f2a, v117
	v_add_f32_e32 v6, v103, v6
	s_delay_alu instid0(VALU_DEP_2) | instskip(NEXT) | instid1(VALU_DEP_1)
	v_fmamk_f32 v103, v83, 0xbf788fa5, v94
	v_dual_add_f32 v6, v103, v6 :: v_dual_fmamk_f32 v103, v72, 0xbf3f9e67, v104
	s_delay_alu instid0(VALU_DEP_1) | instskip(NEXT) | instid1(VALU_DEP_1)
	v_add_f32_e32 v103, v103, v8
	v_add_f32_e32 v103, v107, v103
	v_mul_f32_e32 v107, 0x3e750f2a, v114
	s_delay_alu instid0(VALU_DEP_1) | instskip(SKIP_1) | instid1(VALU_DEP_2)
	v_dual_add_f32 v103, v109, v103 :: v_dual_fmamk_f32 v118, v78, 0xbf788fa5, v107
	v_mul_f32_e32 v109, 0x3e750f2a, v115
	v_add_f32_e32 v118, v118, v103
	v_mul_f32_e32 v103, 0xbf6f5d39, v123
	s_delay_alu instid0(VALU_DEP_3) | instskip(NEXT) | instid1(VALU_DEP_2)
	v_fma_f32 v120, 0xbf788fa5, v79, -v109
	v_dual_fmamk_f32 v5, v85, 0xbeb58ec6, v103 :: v_dual_add_f32 v6, v106, v6
	v_fma_f32 v106, 0xbf3f9e67, v80, -v111
	s_delay_alu instid0(VALU_DEP_1) | instskip(SKIP_2) | instid1(VALU_DEP_3)
	v_add_f32_e32 v113, v106, v9
	v_mul_f32_e32 v106, 0x3eedf032, v117
	v_mul_f32_e32 v117, 0xbf6f5d39, v117
	v_add_f32_e32 v113, v116, v113
	v_fma_f32 v116, 0x3f116cb1, v77, -v110
	s_delay_alu instid0(VALU_DEP_1) | instskip(NEXT) | instid1(VALU_DEP_1)
	v_dual_add_f32 v113, v116, v113 :: v_dual_mul_f32 v116, 0xbe750f2a, v4
	v_dual_add_f32 v130, v120, v113 :: v_dual_mul_f32 v113, 0x3eedf032, v122
	v_fmamk_f32 v119, v83, 0x3f62ad3f, v106
	v_mul_f32_e32 v122, 0xbf6f5d39, v122
	s_delay_alu instid0(VALU_DEP_2) | instskip(SKIP_2) | instid1(VALU_DEP_3)
	v_dual_add_f32 v4, v119, v118 :: v_dual_fmamk_f32 v119, v72, 0xbf788fa5, v116
	v_mul_f32_e32 v118, 0x3eedf032, v7
	v_fma_f32 v7, 0xbf788fa5, v80, -v124
	v_add_f32_e32 v4, v5, v4
	s_delay_alu instid0(VALU_DEP_4) | instskip(NEXT) | instid1(VALU_DEP_3)
	v_dual_add_f32 v34, v119, v8 :: v_dual_mul_f32 v119, 0xbf29c268, v35
	v_dual_fmamk_f32 v120, v74, 0x3f62ad3f, v118 :: v_dual_add_f32 v7, v7, v9
	v_fma_f32 v35, 0x3f62ad3f, v82, -v113
	s_delay_alu instid0(VALU_DEP_3) | instskip(NEXT) | instid1(VALU_DEP_3)
	v_fmamk_f32 v62, v76, 0xbf3f9e67, v119
	v_dual_add_f32 v34, v120, v34 :: v_dual_add_f32 v7, v121, v7
	v_dual_mul_f32 v121, 0x3f52af12, v115 :: v_dual_mul_f32 v120, 0x3f52af12, v114
	s_delay_alu instid0(VALU_DEP_4) | instskip(NEXT) | instid1(VALU_DEP_3)
	v_add_f32_e32 v35, v35, v130
	v_dual_add_f32 v34, v62, v34 :: v_dual_add_f32 v7, v131, v7
	s_delay_alu instid0(VALU_DEP_3) | instskip(NEXT) | instid1(VALU_DEP_4)
	v_fma_f32 v115, 0x3f116cb1, v79, -v121
	v_fmamk_f32 v62, v78, 0x3f116cb1, v120
	v_mul_f32_e32 v114, 0xbf6f5d39, v127
	v_fma_f32 v130, 0xbeb58ec6, v82, -v122
	s_delay_alu instid0(VALU_DEP_3) | instskip(SKIP_4) | instid1(VALU_DEP_3)
	v_dual_add_f32 v7, v115, v7 :: v_dual_add_f32 v34, v62, v34
	v_mul_f32_e32 v115, 0x3f7e222b, v123
	v_fmamk_f32 v62, v83, 0xbeb58ec6, v117
	v_mul_f32_e32 v123, 0x3f7e222b, v127
	v_fma_f32 v127, 0xbeb58ec6, v86, -v114
	v_add_f32_e32 v34, v62, v34
	v_add_f32_e32 v62, v130, v7
	v_fmamk_f32 v130, v85, 0x3df6dbef, v115
	v_fma_f32 v131, 0x3df6dbef, v86, -v123
	v_add_f32_e32 v7, v129, v128
	s_delay_alu instid0(VALU_DEP_3) | instskip(NEXT) | instid1(VALU_DEP_3)
	v_dual_add_f32 v5, v127, v35 :: v_dual_add_f32 v34, v130, v34
	v_add_f32_e32 v35, v131, v62
	v_mul_lo_u16 v62, v61, 13
	s_and_saveexec_b32 s0, vcc_lo
	s_cbranch_execz .LBB0_7
; %bb.6:
	v_mul_f32_e32 v133, 0xbf788fa5, v80
	v_mul_f32_e32 v127, 0x3f62ad3f, v72
	;; [unrolled: 1-line block ×3, first 2 shown]
	v_dual_mul_f32 v129, 0x3f116cb1, v72 :: v_dual_mul_f32 v138, 0x3f116cb1, v75
	s_delay_alu instid0(VALU_DEP_4)
	v_dual_add_f32 v124, v124, v133 :: v_dual_mul_f32 v133, 0x3f62ad3f, v75
	v_mul_f32_e32 v131, 0x3df6dbef, v72
	v_mul_f32_e32 v132, 0x3df6dbef, v80
	v_dual_mul_f32 v134, 0xbeb58ec6, v72 :: v_dual_mul_f32 v139, 0xbeb58ec6, v74
	v_mul_f32_e32 v136, 0xbf3f9e67, v72
	v_dual_mul_f32 v72, 0xbf788fa5, v72 :: v_dual_mul_f32 v141, 0xbf788fa5, v74
	v_add_f32_e32 v124, v124, v9
	v_add_f32_e32 v125, v125, v133
	v_mul_f32_e32 v133, 0xbf3f9e67, v77
	v_dual_mul_f32 v130, 0x3f116cb1, v80 :: v_dual_mul_f32 v137, 0x3f116cb1, v74
	v_dual_mul_f32 v135, 0xbeb58ec6, v80 :: v_dual_mul_f32 v140, 0xbeb58ec6, v75
	v_mul_f32_e32 v80, 0xbf3f9e67, v80
	s_delay_alu instid0(VALU_DEP_4) | instskip(SKIP_3) | instid1(VALU_DEP_4)
	v_dual_add_f32 v124, v125, v124 :: v_dual_add_f32 v125, v126, v133
	v_dual_mul_f32 v133, 0x3f62ad3f, v74 :: v_dual_sub_f32 v72, v72, v116
	v_mul_f32_e32 v116, 0x3f116cb1, v79
	v_mul_f32_e32 v126, 0xbf788fa5, v75
	v_dual_add_f32 v124, v125, v124 :: v_dual_mul_f32 v125, 0xbf3f9e67, v74
	s_delay_alu instid0(VALU_DEP_4)
	v_sub_f32_e32 v118, v133, v118
	v_add_f32_e32 v72, v72, v8
	v_add_f32_e32 v116, v121, v116
	v_mul_f32_e32 v121, 0xbf3f9e67, v76
	v_mul_f32_e32 v133, 0xbf3f9e67, v75
	v_dual_mul_f32 v74, 0x3df6dbef, v74 :: v_dual_mul_f32 v75, 0x3df6dbef, v75
	s_delay_alu instid0(VALU_DEP_3) | instskip(SKIP_1) | instid1(VALU_DEP_3)
	v_dual_add_f32 v72, v118, v72 :: v_dual_sub_f32 v119, v121, v119
	v_mul_f32_e32 v118, 0xbeb58ec6, v82
	v_dual_add_f32 v80, v111, v80 :: v_dual_add_f32 v75, v112, v75
	s_delay_alu instid0(VALU_DEP_3) | instskip(SKIP_3) | instid1(VALU_DEP_3)
	v_dual_mul_f32 v111, 0xbeb58ec6, v77 :: v_dual_add_f32 v72, v119, v72
	v_dual_mul_f32 v119, 0x3df6dbef, v86 :: v_dual_add_f32 v116, v116, v124
	v_mul_f32_e32 v124, 0x3f116cb1, v78
	v_mul_f32_e32 v112, 0x3f62ad3f, v77
	v_dual_add_f32 v80, v80, v9 :: v_dual_add_f32 v119, v123, v119
	v_mul_f32_e32 v123, 0xbeb58ec6, v83
	v_dual_mul_f32 v121, 0x3df6dbef, v76 :: v_dual_add_f32 v118, v122, v118
	v_sub_f32_e32 v120, v124, v120
	s_delay_alu instid0(VALU_DEP_3) | instskip(SKIP_1) | instid1(VALU_DEP_4)
	v_dual_mul_f32 v142, 0xbeb58ec6, v78 :: v_dual_sub_f32 v117, v123, v117
	v_mul_f32_e32 v123, 0x3f62ad3f, v76
	v_add_f32_e32 v116, v118, v116
	v_mul_f32_e32 v118, 0xbf788fa5, v77
	v_add_f32_e32 v72, v120, v72
	v_mul_f32_e32 v122, 0x3df6dbef, v77
	v_mul_f32_e32 v77, 0x3f116cb1, v77
	v_sub_f32_e32 v74, v74, v105
	v_add_f32_e32 v101, v101, v133
	v_add_f32_e32 v117, v117, v72
	s_delay_alu instid0(VALU_DEP_4) | instskip(SKIP_3) | instid1(VALU_DEP_4)
	v_dual_add_f32 v72, v75, v80 :: v_dual_add_f32 v77, v110, v77
	v_mul_f32_e32 v110, 0xbf788fa5, v79
	v_mul_f32_e32 v124, 0xbf788fa5, v76
	v_dual_sub_f32 v75, v136, v104 :: v_dual_mul_f32 v80, 0xbeb58ec6, v79
	v_add_f32_e32 v72, v77, v72
	s_delay_alu instid0(VALU_DEP_4) | instskip(NEXT) | instid1(VALU_DEP_3)
	v_add_f32_e32 v109, v109, v110
	v_dual_mul_f32 v104, 0xbf3f9e67, v78 :: v_dual_add_f32 v75, v75, v8
	v_mul_f32_e32 v77, 0x3f62ad3f, v78
	v_mul_f32_e32 v136, 0x3df6dbef, v78
	;; [unrolled: 1-line block ×4, first 2 shown]
	v_dual_add_f32 v72, v109, v72 :: v_dual_mul_f32 v143, 0x3f116cb1, v83
	v_mul_f32_e32 v109, 0x3df6dbef, v85
	v_mul_f32_e32 v76, 0x3f116cb1, v76
	v_dual_add_f32 v74, v74, v75 :: v_dual_mul_f32 v133, 0x3f62ad3f, v85
	v_sub_f32_e32 v95, v125, v95
	v_mul_f32_e32 v105, 0xbf3f9e67, v79
	s_delay_alu instid0(VALU_DEP_4) | instskip(SKIP_1) | instid1(VALU_DEP_2)
	v_dual_sub_f32 v75, v76, v108 :: v_dual_mul_f32 v76, 0x3f62ad3f, v82
	v_dual_sub_f32 v92, v134, v92 :: v_dual_mul_f32 v125, 0x3f116cb1, v85
	v_dual_add_f32 v49, v49, v132 :: v_dual_add_f32 v74, v75, v74
	s_delay_alu instid0(VALU_DEP_3) | instskip(SKIP_2) | instid1(VALU_DEP_3)
	v_dual_add_f32 v76, v113, v76 :: v_dual_sub_f32 v75, v78, v107
	v_mul_f32_e32 v78, 0x3df6dbef, v83
	v_sub_f32_e32 v107, v109, v115
	v_dual_mul_f32 v109, 0x3f62ad3f, v83 :: v_dual_add_f32 v76, v76, v72
	s_delay_alu instid0(VALU_DEP_4)
	v_dual_add_f32 v72, v75, v74 :: v_dual_add_f32 v75, v100, v135
	v_mul_f32_e32 v110, 0x3f62ad3f, v79
	v_mul_f32_e32 v79, 0x3df6dbef, v79
	;; [unrolled: 1-line block ×4, first 2 shown]
	v_add_f32_e32 v75, v75, v9
	v_mul_f32_e32 v115, 0x3df6dbef, v82
	v_add_f32_e32 v79, v97, v79
	v_dual_sub_f32 v74, v109, v106 :: v_dual_sub_f32 v91, v123, v91
	s_delay_alu instid0(VALU_DEP_4) | instskip(SKIP_3) | instid1(VALU_DEP_4)
	v_dual_add_f32 v101, v101, v75 :: v_dual_add_f32 v100, v114, v100
	v_mul_f32_e32 v108, 0xbf3f9e67, v83
	v_dual_mul_f32 v83, 0xbf788fa5, v83 :: v_dual_add_f32 v102, v102, v112
	v_mul_f32_e32 v109, 0xbf788fa5, v85
	v_add_f32_e32 v75, v100, v76
	s_delay_alu instid0(VALU_DEP_3) | instskip(NEXT) | instid1(VALU_DEP_4)
	v_dual_add_f32 v76, v92, v8 :: v_dual_sub_f32 v83, v83, v94
	v_add_f32_e32 v92, v102, v101
	v_dual_mul_f32 v114, 0xbf788fa5, v86 :: v_dual_add_f32 v49, v49, v9
	v_add_f32_e32 v88, v88, v126
	v_mul_f32_e32 v135, 0x3f62ad3f, v86
	s_delay_alu instid0(VALU_DEP_4)
	v_dual_add_f32 v79, v79, v92 :: v_dual_mul_f32 v112, 0xbf3f9e67, v85
	v_mul_f32_e32 v85, 0xbeb58ec6, v85
	v_mul_f32_e32 v106, 0x3f116cb1, v82
	;; [unrolled: 1-line block ×3, first 2 shown]
	v_dual_add_f32 v74, v74, v72 :: v_dual_add_f32 v49, v88, v49
	v_mul_f32_e32 v134, 0xbf3f9e67, v86
	v_dual_mul_f32 v86, 0x3f116cb1, v86 :: v_dual_sub_f32 v57, v141, v57
	s_delay_alu instid0(VALU_DEP_4) | instskip(SKIP_2) | instid1(VALU_DEP_3)
	v_dual_sub_f32 v85, v85, v103 :: v_dual_add_f32 v82, v98, v82
	v_sub_f32_e32 v67, v120, v67
	v_dual_add_f32 v88, v89, v111 :: v_dual_add_f32 v43, v43, v130
	v_dual_add_f32 v74, v85, v74 :: v_dual_add_f32 v79, v82, v79
	v_sub_f32_e32 v85, v131, v44
	s_delay_alu instid0(VALU_DEP_3) | instskip(NEXT) | instid1(VALU_DEP_4)
	v_add_f32_e32 v49, v88, v49
	v_dual_add_f32 v43, v43, v9 :: v_dual_add_f32 v48, v48, v140
	v_add_f32_e32 v82, v99, v86
	v_add_f32_e32 v86, v90, v110
	;; [unrolled: 1-line block ×3, first 2 shown]
	v_sub_f32_e32 v45, v139, v45
	v_add_f32_e32 v43, v48, v43
	v_add_f32_e32 v44, v82, v79
	v_add_f32_e32 v49, v86, v49
	v_add_f32_e32 v79, v87, v106
	v_add_f32_e32 v76, v95, v76
	v_add_f32_e32 v82, v85, v8
	v_sub_f32_e32 v40, v129, v40
	v_add_f32_e32 v48, v55, v118
	v_add_f32_e32 v49, v79, v49
	v_dual_add_f32 v79, v84, v134 :: v_dual_add_f32 v76, v91, v76
	v_add_f32_e32 v57, v57, v82
	v_sub_f32_e32 v91, v136, v93
	v_dual_add_f32 v11, v11, v9 :: v_dual_add_f32 v10, v10, v8
	s_delay_alu instid0(VALU_DEP_4) | instskip(NEXT) | instid1(VALU_DEP_4)
	v_add_f32_e32 v49, v79, v49
	v_add_f32_e32 v57, v67, v57
	s_delay_alu instid0(VALU_DEP_4) | instskip(NEXT) | instid1(VALU_DEP_1)
	v_dual_add_f32 v76, v91, v76 :: v_dual_sub_f32 v67, v77, v70
	v_dual_add_f32 v28, v28, v10 :: v_dual_add_f32 v55, v67, v57
	v_dual_sub_f32 v57, v143, v71 :: v_dual_add_f32 v40, v40, v8
	s_delay_alu instid0(VALU_DEP_2) | instskip(NEXT) | instid1(VALU_DEP_2)
	v_dual_add_f32 v28, v30, v28 :: v_dual_add_f32 v71, v107, v117
	v_dual_add_f32 v40, v45, v40 :: v_dual_sub_f32 v45, v124, v53
	v_dual_add_f32 v76, v83, v76 :: v_dual_add_f32 v43, v48, v43
	v_add_f32_e32 v48, v65, v105
	v_add_f32_e32 v53, v57, v55
	s_delay_alu instid0(VALU_DEP_4) | instskip(SKIP_1) | instid1(VALU_DEP_4)
	v_dual_sub_f32 v55, v112, v81 :: v_dual_add_f32 v40, v45, v40
	v_sub_f32_e32 v45, v104, v58
	v_add_f32_e32 v43, v48, v43
	v_add_f32_e32 v48, v69, v115
	;; [unrolled: 1-line block ×3, first 2 shown]
	v_dual_add_f32 v11, v29, v11 :: v_dual_add_f32 v24, v24, v28
	v_sub_f32_e32 v29, v78, v63
	s_delay_alu instid0(VALU_DEP_4) | instskip(NEXT) | instid1(VALU_DEP_3)
	v_dual_add_f32 v43, v48, v43 :: v_dual_add_f32 v48, v55, v53
	v_dual_add_f32 v11, v31, v11 :: v_dual_add_f32 v24, v26, v24
	v_add_f32_e32 v40, v45, v40
	s_delay_alu instid0(VALU_DEP_3) | instskip(NEXT) | instid1(VALU_DEP_3)
	v_add_f32_e32 v10, v57, v43
	v_dual_add_f32 v28, v39, v138 :: v_dual_add_f32 v11, v25, v11
	v_add_f32_e32 v30, v37, v128
	v_sub_f32_e32 v25, v127, v36
	v_add_f32_e32 v29, v29, v40
	v_sub_f32_e32 v31, v133, v68
	v_add_f32_e32 v11, v27, v11
	s_delay_alu instid0(VALU_DEP_4) | instskip(SKIP_1) | instid1(VALU_DEP_3)
	v_dual_add_f32 v9, v30, v9 :: v_dual_add_f32 v8, v25, v8
	v_dual_sub_f32 v25, v137, v38 :: v_dual_add_f32 v20, v20, v24
	v_add_f32_e32 v11, v21, v11
	s_delay_alu instid0(VALU_DEP_3) | instskip(SKIP_1) | instid1(VALU_DEP_3)
	v_add_f32_e32 v9, v28, v9
	v_dual_add_f32 v21, v42, v122 :: v_dual_sub_f32 v24, v121, v41
	v_dual_add_f32 v20, v22, v20 :: v_dual_add_f32 v11, v23, v11
	v_add_f32_e32 v8, v25, v8
	s_delay_alu instid0(VALU_DEP_3) | instskip(SKIP_1) | instid1(VALU_DEP_4)
	v_add_f32_e32 v9, v21, v9
	v_add_f32_e32 v21, v47, v80
	v_dual_add_f32 v16, v16, v20 :: v_dual_add_f32 v11, v17, v11
	s_delay_alu instid0(VALU_DEP_4) | instskip(SKIP_1) | instid1(VALU_DEP_3)
	v_add_f32_e32 v8, v24, v8
	v_dual_add_f32 v20, v56, v113 :: v_dual_sub_f32 v83, v125, v96
	v_add_f32_e32 v16, v18, v16
	v_sub_f32_e32 v17, v142, v46
	v_dual_add_f32 v11, v19, v11 :: v_dual_and_b32 v18, 0xffff, v62
	s_delay_alu instid0(VALU_DEP_3) | instskip(NEXT) | instid1(VALU_DEP_3)
	v_dual_add_f32 v9, v21, v9 :: v_dual_add_f32 v12, v12, v16
	v_dual_add_f32 v8, v17, v8 :: v_dual_sub_f32 v17, v108, v54
	s_delay_alu instid0(VALU_DEP_3) | instskip(SKIP_2) | instid1(VALU_DEP_3)
	v_add_f32_e32 v11, v13, v11
	v_dual_add_f32 v13, v66, v114 :: v_dual_sub_f32 v16, v109, v64
	v_add_f32_e32 v43, v83, v76
	v_dual_add_f32 v8, v17, v8 :: v_dual_add_f32 v15, v15, v11
	s_delay_alu instid0(VALU_DEP_1) | instskip(SKIP_1) | instid1(VALU_DEP_3)
	v_dual_add_f32 v11, v16, v8 :: v_dual_lshlrev_b32 v8, 3, v18
	v_add_f32_e32 v9, v20, v9
	v_dual_add_f32 v17, v14, v12 :: v_dual_add_f32 v14, v33, v15
	s_delay_alu instid0(VALU_DEP_2) | instskip(NEXT) | instid1(VALU_DEP_2)
	v_add_f32_e32 v12, v13, v9
	v_add_f32_e32 v13, v32, v17
	;; [unrolled: 1-line block ×3, first 2 shown]
	ds_store_2addr_b64 v8, v[13:14], v[11:12] offset1:1
	ds_store_2addr_b64 v8, v[9:10], v[48:49] offset0:2 offset1:3
	ds_store_2addr_b64 v8, v[43:44], v[74:75] offset0:4 offset1:5
	;; [unrolled: 1-line block ×5, first 2 shown]
	ds_store_b64 v8, v[51:52] offset:96
.LBB0_7:
	s_wait_alu 0xfffe
	s_or_b32 exec_lo, exec_lo, s0
	v_and_b32_e32 v8, 0xff, v61
	s_load_b128 s[4:7], s[4:5], 0x0
	global_wb scope:SCOPE_SE
	s_wait_dscnt 0x0
	s_wait_kmcnt 0x0
	s_barrier_signal -1
	s_barrier_wait -1
	v_mul_lo_u16 v8, 0x4f, v8
	global_inv scope:SCOPE_SE
	v_cmp_gt_u16_e64 s0, 0x5b, v61
	v_lshrrev_b16 v33, 10, v8
	s_delay_alu instid0(VALU_DEP_1) | instskip(NEXT) | instid1(VALU_DEP_1)
	v_mul_lo_u16 v8, v33, 13
	v_sub_nc_u16 v8, v61, v8
	s_delay_alu instid0(VALU_DEP_1) | instskip(NEXT) | instid1(VALU_DEP_1)
	v_and_b32_e32 v38, 0xff, v8
	v_mul_u32_u24_e32 v8, 6, v38
	s_delay_alu instid0(VALU_DEP_1)
	v_lshlrev_b32_e32 v8, 3, v8
	s_clause 0x2
	global_load_b128 v[16:19], v8, s[2:3]
	global_load_b128 v[12:15], v8, s[2:3] offset:16
	global_load_b128 v[8:11], v8, s[2:3] offset:32
	ds_load_2addr_b64 v[21:24], v60 offset1:104
	v_and_b32_e32 v33, 0xffff, v33
	v_add_nc_u32_e32 v20, 0x400, v60
	v_add_nc_u32_e32 v29, 0xc00, v60
	s_delay_alu instid0(VALU_DEP_3) | instskip(NEXT) | instid1(VALU_DEP_1)
	v_mul_u32_u24_e32 v33, 0x5b, v33
	v_add_lshl_u32 v63, v33, v38, 3
	s_wait_loadcnt_dscnt 0x200
	v_mul_f32_e32 v38, v23, v17
	ds_load_2addr_b64 v[25:28], v20 offset0:80 offset1:184
	ds_load_2addr_b64 v[29:32], v29 offset0:32 offset1:136
	ds_load_b64 v[36:37], v60 offset:4992
	v_mul_f32_e32 v33, v24, v17
	global_wb scope:SCOPE_SE
	s_wait_loadcnt_dscnt 0x0
	s_barrier_signal -1
	s_barrier_wait -1
	global_inv scope:SCOPE_SE
	v_fma_f32 v23, v23, v16, -v33
	v_dual_fmac_f32 v38, v24, v16 :: v_dual_mul_f32 v39, v26, v19
	v_dual_mul_f32 v40, v25, v19 :: v_dual_mul_f32 v41, v28, v13
	v_dual_mul_f32 v42, v27, v13 :: v_dual_mul_f32 v47, v37, v11
	v_mul_f32_e32 v43, v30, v15
	v_dual_mul_f32 v44, v29, v15 :: v_dual_mul_f32 v45, v32, v9
	v_fma_f32 v24, v25, v18, -v39
	v_fma_f32 v25, v27, v12, -v41
	v_fma_f32 v27, v36, v10, -v47
	v_fmac_f32_e32 v40, v26, v18
	v_fma_f32 v26, v29, v14, -v43
	v_mul_f32_e32 v48, v36, v11
	v_fmac_f32_e32 v42, v28, v12
	v_fma_f32 v28, v31, v8, -v45
	v_add_f32_e32 v29, v23, v27
	v_add_f32_e32 v33, v25, v26
	v_dual_sub_f32 v25, v26, v25 :: v_dual_fmac_f32 v48, v37, v10
	v_mul_f32_e32 v46, v31, v9
	v_sub_f32_e32 v23, v23, v27
	v_dual_add_f32 v31, v24, v28 :: v_dual_fmac_f32 v44, v30, v14
	s_delay_alu instid0(VALU_DEP_4) | instskip(NEXT) | instid1(VALU_DEP_4)
	v_sub_f32_e32 v27, v38, v48
	v_fmac_f32_e32 v46, v32, v8
	v_add_f32_e32 v30, v38, v48
	s_delay_alu instid0(VALU_DEP_4) | instskip(NEXT) | instid1(VALU_DEP_3)
	v_dual_sub_f32 v24, v24, v28 :: v_dual_add_f32 v37, v31, v29
	v_dual_sub_f32 v39, v31, v29 :: v_dual_add_f32 v32, v40, v46
	v_dual_sub_f32 v31, v33, v31 :: v_dual_sub_f32 v28, v40, v46
	s_delay_alu instid0(VALU_DEP_3) | instskip(SKIP_3) | instid1(VALU_DEP_2)
	v_add_f32_e32 v41, v25, v24
	v_add_f32_e32 v36, v42, v44
	v_dual_sub_f32 v26, v44, v42 :: v_dual_sub_f32 v43, v25, v24
	v_dual_sub_f32 v29, v29, v33 :: v_dual_add_f32 v38, v32, v30
	v_dual_add_f32 v33, v33, v37 :: v_dual_add_f32 v42, v26, v28
	s_delay_alu instid0(VALU_DEP_3) | instskip(NEXT) | instid1(VALU_DEP_3)
	v_dual_mul_f32 v43, 0xbf08b237, v43 :: v_dual_sub_f32 v40, v32, v30
	v_dual_sub_f32 v30, v30, v36 :: v_dual_mul_f32 v29, 0x3f4a47b2, v29
	v_dual_sub_f32 v32, v36, v32 :: v_dual_sub_f32 v25, v23, v25
	v_sub_f32_e32 v24, v24, v23
	v_dual_add_f32 v23, v41, v23 :: v_dual_add_f32 v38, v36, v38
	v_add_f32_e32 v36, v21, v33
	v_dual_sub_f32 v44, v26, v28 :: v_dual_fmamk_f32 v21, v31, 0x3d64c772, v29
	v_fma_f32 v29, 0xbf3bfb3b, v39, -v29
	v_mul_f32_e32 v41, 0x3d64c772, v31
	s_delay_alu instid0(VALU_DEP_4) | instskip(SKIP_3) | instid1(VALU_DEP_4)
	v_fmamk_f32 v33, v33, 0xbf955555, v36
	v_add_f32_e32 v37, v22, v38
	v_dual_sub_f32 v26, v27, v26 :: v_dual_mul_f32 v45, 0x3f5ff5aa, v24
	v_fma_f32 v24, 0x3f5ff5aa, v24, -v43
	v_dual_mul_f32 v30, 0x3f4a47b2, v30 :: v_dual_add_f32 v21, v21, v33
	v_mul_f32_e32 v44, 0xbf08b237, v44
	v_sub_f32_e32 v28, v28, v27
	s_delay_alu instid0(VALU_DEP_4)
	v_fmac_f32_e32 v24, 0x3ee1c552, v23
	v_fmamk_f32 v48, v25, 0x3eae86e6, v43
	v_fma_f32 v25, 0xbeae86e6, v25, -v45
	v_add_f32_e32 v27, v42, v27
	v_fmamk_f32 v49, v26, 0x3eae86e6, v44
	v_fma_f32 v31, 0x3f3bfb3b, v39, -v41
	v_mul_f32_e32 v42, 0x3d64c772, v32
	v_fmac_f32_e32 v25, 0x3ee1c552, v23
	v_fmamk_f32 v22, v32, 0x3d64c772, v30
	v_fma_f32 v30, 0xbf3bfb3b, v40, -v30
	v_fmamk_f32 v38, v38, 0xbf955555, v37
	v_mul_f32_e32 v46, 0x3f5ff5aa, v28
	v_fma_f32 v28, 0x3f5ff5aa, v28, -v44
	v_fmac_f32_e32 v48, 0x3ee1c552, v23
	v_fmac_f32_e32 v49, 0x3ee1c552, v27
	v_add_f32_e32 v23, v31, v33
	v_fma_f32 v26, 0xbeae86e6, v26, -v46
	v_fma_f32 v32, 0x3f3bfb3b, v40, -v42
	v_fmac_f32_e32 v28, 0x3ee1c552, v27
	s_delay_alu instid0(VALU_DEP_3) | instskip(SKIP_1) | instid1(VALU_DEP_1)
	v_dual_fmac_f32 v26, 0x3ee1c552, v27 :: v_dual_add_f32 v27, v29, v33
	v_add_f32_e32 v29, v30, v38
	v_dual_add_f32 v40, v26, v27 :: v_dual_sub_f32 v41, v29, v25
	v_dual_add_f32 v47, v25, v29 :: v_dual_add_f32 v22, v22, v38
	v_add_f32_e32 v30, v32, v38
	v_add_f32_e32 v38, v49, v21
	v_sub_f32_e32 v46, v27, v26
	s_delay_alu instid0(VALU_DEP_3)
	v_dual_sub_f32 v32, v21, v49 :: v_dual_sub_f32 v45, v30, v24
	v_add_f32_e32 v33, v48, v22
	v_sub_f32_e32 v39, v22, v48
	v_dual_sub_f32 v42, v23, v28 :: v_dual_add_f32 v43, v24, v30
	v_add_f32_e32 v44, v28, v23
	ds_store_2addr_b64 v63, v[36:37], v[38:39] offset1:13
	ds_store_2addr_b64 v63, v[40:41], v[42:43] offset0:26 offset1:39
	ds_store_2addr_b64 v63, v[44:45], v[46:47] offset0:52 offset1:65
	ds_store_b64 v63, v[32:33] offset:624
	global_wb scope:SCOPE_SE
	s_wait_dscnt 0x0
	s_barrier_signal -1
	s_barrier_wait -1
	global_inv scope:SCOPE_SE
	s_and_saveexec_b32 s1, s0
	s_cbranch_execz .LBB0_9
; %bb.8:
	v_add_nc_u32_e32 v21, 0x800, v60
	v_add_nc_u32_e32 v22, 0x1000, v60
	ds_load_2addr_b64 v[36:39], v60 offset1:91
	ds_load_2addr_b64 v[40:43], v20 offset0:54 offset1:145
	ds_load_2addr_b64 v[44:47], v21 offset0:108 offset1:199
	;; [unrolled: 1-line block ×3, first 2 shown]
.LBB0_9:
	s_wait_alu 0xfffe
	s_or_b32 exec_lo, exec_lo, s1
	v_add_nc_u32_e32 v20, 0xffffffa5, v61
	s_delay_alu instid0(VALU_DEP_1) | instskip(NEXT) | instid1(VALU_DEP_1)
	v_cndmask_b32_e64 v20, v20, v61, s0
	v_mul_i32_i24_e32 v21, 56, v20
	v_mul_hi_i32_i24_e32 v20, 56, v20
	s_delay_alu instid0(VALU_DEP_2) | instskip(SKIP_1) | instid1(VALU_DEP_2)
	v_add_co_u32 v48, s1, s2, v21
	s_wait_alu 0xf1ff
	v_add_co_ci_u32_e64 v49, s1, s3, v20, s1
	s_clause 0x3
	global_load_b128 v[24:27], v[48:49], off offset:624
	global_load_b128 v[20:23], v[48:49], off offset:640
	global_load_b128 v[28:31], v[48:49], off offset:656
	global_load_b64 v[53:54], v[48:49], off offset:672
	s_wait_loadcnt_dscnt 0x302
	v_dual_mul_f32 v55, v41, v27 :: v_dual_mul_f32 v48, v39, v25
	s_wait_loadcnt_dscnt 0x201
	v_mul_f32_e32 v65, v44, v23
	v_dual_mul_f32 v49, v38, v25 :: v_dual_mul_f32 v56, v40, v27
	v_dual_mul_f32 v57, v43, v21 :: v_dual_mul_f32 v64, v45, v23
	s_wait_loadcnt_dscnt 0x100
	v_dual_mul_f32 v58, v42, v21 :: v_dual_mul_f32 v69, v32, v31
	s_wait_loadcnt 0x0
	v_dual_mul_f32 v66, v47, v29 :: v_dual_mul_f32 v71, v34, v54
	v_dual_mul_f32 v67, v46, v29 :: v_dual_mul_f32 v68, v33, v31
	v_fma_f32 v38, v38, v24, -v48
	v_dual_fmac_f32 v49, v39, v24 :: v_dual_fmac_f32 v56, v41, v26
	v_fma_f32 v39, v40, v26, -v55
	v_fma_f32 v40, v42, v20, -v57
	v_dual_fmac_f32 v58, v43, v20 :: v_dual_fmac_f32 v65, v45, v22
	v_mul_f32_e32 v70, v35, v54
	v_fma_f32 v41, v44, v22, -v64
	v_fma_f32 v42, v46, v28, -v66
	v_fmac_f32_e32 v67, v47, v28
	v_fma_f32 v32, v32, v30, -v68
	v_fmac_f32_e32 v69, v33, v30
	s_delay_alu instid0(VALU_DEP_4)
	v_dual_fmac_f32 v71, v35, v53 :: v_dual_sub_f32 v42, v38, v42
	v_sub_f32_e32 v35, v37, v65
	v_fma_f32 v33, v34, v53, -v70
	v_sub_f32_e32 v34, v36, v41
	v_dual_sub_f32 v32, v39, v32 :: v_dual_sub_f32 v41, v56, v69
	v_sub_f32_e32 v44, v58, v71
	v_sub_f32_e32 v43, v49, v67
	;; [unrolled: 1-line block ×3, first 2 shown]
	v_fma_f32 v37, v37, 2.0, -v35
	v_fma_f32 v39, v39, 2.0, -v32
	;; [unrolled: 1-line block ×3, first 2 shown]
	v_sub_f32_e32 v48, v34, v41
	v_fma_f32 v46, v49, 2.0, -v43
	v_add_f32_e32 v49, v35, v32
	v_sub_f32_e32 v32, v42, v44
	v_sub_f32_e32 v56, v37, v45
	v_fma_f32 v36, v36, 2.0, -v34
	v_fma_f32 v38, v38, 2.0, -v42
	;; [unrolled: 1-line block ×4, first 2 shown]
	v_add_f32_e32 v33, v43, v33
	v_fma_f32 v34, v34, 2.0, -v48
	v_fma_f32 v57, v42, 2.0, -v32
	v_sub_f32_e32 v55, v36, v39
	v_fma_f32 v35, v35, 2.0, -v49
	v_sub_f32_e32 v47, v46, v47
	v_fma_f32 v37, v37, 2.0, -v56
	v_dual_fmamk_f32 v44, v57, 0xbf3504f3, v34 :: v_dual_sub_f32 v39, v38, v40
	v_fmamk_f32 v40, v32, 0x3f3504f3, v48
	v_fma_f32 v58, v43, 2.0, -v33
	v_fma_f32 v36, v36, 2.0, -v55
	s_delay_alu instid0(VALU_DEP_4) | instskip(SKIP_1) | instid1(VALU_DEP_4)
	v_fma_f32 v42, v38, 2.0, -v39
	v_fmamk_f32 v41, v33, 0x3f3504f3, v49
	v_dual_fmamk_f32 v45, v58, 0xbf3504f3, v35 :: v_dual_fmac_f32 v44, 0xbf3504f3, v58
	v_fmac_f32_e32 v40, 0xbf3504f3, v33
	v_fma_f32 v43, v46, 2.0, -v47
	v_sub_f32_e32 v38, v55, v47
	v_add_f32_e32 v39, v56, v39
	v_dual_sub_f32 v42, v36, v42 :: v_dual_fmac_f32 v41, 0x3f3504f3, v32
	s_delay_alu instid0(VALU_DEP_4)
	v_sub_f32_e32 v43, v37, v43
	v_fmac_f32_e32 v45, 0x3f3504f3, v57
	v_fma_f32 v46, v55, 2.0, -v38
	v_fma_f32 v47, v56, 2.0, -v39
	;; [unrolled: 1-line block ×8, first 2 shown]
	s_and_saveexec_b32 s1, s0
	s_cbranch_execz .LBB0_11
; %bb.10:
	v_add_nc_u32_e32 v36, 0x400, v60
	v_add_nc_u32_e32 v37, 0x800, v60
	;; [unrolled: 1-line block ×3, first 2 shown]
	ds_store_2addr_b64 v60, v[32:33], v[34:35] offset1:91
	ds_store_2addr_b64 v36, v[46:47], v[48:49] offset0:54 offset1:145
	ds_store_2addr_b64 v37, v[42:43], v[44:45] offset0:108 offset1:199
	;; [unrolled: 1-line block ×3, first 2 shown]
.LBB0_11:
	s_wait_alu 0xfffe
	s_or_b32 exec_lo, exec_lo, s1
	global_wb scope:SCOPE_SE
	s_wait_dscnt 0x0
	s_barrier_signal -1
	s_barrier_wait -1
	global_inv scope:SCOPE_SE
	s_and_saveexec_b32 s1, vcc_lo
	s_cbranch_execz .LBB0_13
; %bb.12:
	global_load_b64 v[36:37], v60, s[12:13] offset:5824
	s_add_nc_u64 s[2:3], s[12:13], 0x16c0
	s_clause 0xb
	global_load_b64 v[84:85], v60, s[2:3] offset:448
	global_load_b64 v[86:87], v60, s[2:3] offset:896
	;; [unrolled: 1-line block ×12, first 2 shown]
	ds_load_b64 v[55:56], v60
	v_add_nc_u32_e32 v108, 0x800, v60
	v_add_nc_u32_e32 v109, 0xc00, v60
	s_wait_loadcnt_dscnt 0xc00
	v_mul_f32_e32 v57, v56, v37
	v_mul_f32_e32 v58, v55, v37
	s_delay_alu instid0(VALU_DEP_2) | instskip(NEXT) | instid1(VALU_DEP_2)
	v_fma_f32 v57, v55, v36, -v57
	v_fmac_f32_e32 v58, v56, v36
	ds_store_b64 v60, v[57:58]
	ds_load_2addr_b64 v[55:58], v60 offset0:56 offset1:112
	v_add_nc_u32_e32 v110, 0x1000, v60
	ds_load_2addr_b64 v[64:67], v60 offset0:168 offset1:224
	ds_load_2addr_b64 v[68:71], v108 offset0:24 offset1:80
	ds_load_2addr_b64 v[72:75], v108 offset0:136 offset1:192
	s_wait_loadcnt_dscnt 0xa03
	v_mul_f32_e32 v111, v58, v87
	ds_load_2addr_b64 v[76:79], v109 offset0:120 offset1:176
	ds_load_2addr_b64 v[80:83], v110 offset0:104 offset1:160
	v_mul_f32_e32 v36, v56, v85
	v_mul_f32_e32 v37, v55, v85
	;; [unrolled: 1-line block ×3, first 2 shown]
	s_wait_loadcnt_dscnt 0x804
	v_dual_mul_f32 v112, v65, v89 :: v_dual_mul_f32 v113, v67, v91
	v_mul_f32_e32 v87, v64, v89
	s_wait_loadcnt_dscnt 0x703
	v_dual_mul_f32 v89, v66, v91 :: v_dual_mul_f32 v114, v69, v93
	v_mul_f32_e32 v91, v68, v93
	;; [unrolled: 3-line block ×3, first 2 shown]
	v_mul_f32_e32 v95, v72, v97
	s_wait_loadcnt 0x4
	v_mul_f32_e32 v117, v75, v99
	v_mul_f32_e32 v97, v74, v99
	v_fma_f32 v36, v55, v84, -v36
	v_fmac_f32_e32 v37, v56, v84
	v_fma_f32 v84, v57, v86, -v111
	s_wait_loadcnt_dscnt 0x301
	v_mul_f32_e32 v118, v77, v101
	s_wait_loadcnt_dscnt 0x100
	v_mul_f32_e32 v120, v81, v105
	v_mul_f32_e32 v99, v76, v101
	;; [unrolled: 1-line block ×5, first 2 shown]
	s_wait_loadcnt 0x0
	v_mul_f32_e32 v121, v83, v107
	v_mul_f32_e32 v105, v82, v107
	v_fmac_f32_e32 v85, v58, v86
	v_fma_f32 v86, v64, v88, -v112
	v_fmac_f32_e32 v87, v65, v88
	v_fma_f32 v88, v66, v90, -v113
	;; [unrolled: 2-line block ×10, first 2 shown]
	v_fmac_f32_e32 v105, v83, v106
	ds_store_2addr_b64 v60, v[36:37], v[84:85] offset0:56 offset1:112
	ds_store_2addr_b64 v60, v[86:87], v[88:89] offset0:168 offset1:224
	;; [unrolled: 1-line block ×6, first 2 shown]
.LBB0_13:
	s_wait_alu 0xfffe
	s_or_b32 exec_lo, exec_lo, s1
	global_wb scope:SCOPE_SE
	s_wait_dscnt 0x0
	s_barrier_signal -1
	s_barrier_wait -1
	global_inv scope:SCOPE_SE
	s_and_saveexec_b32 s1, vcc_lo
	s_cbranch_execz .LBB0_15
; %bb.14:
	v_add_nc_u32_e32 v0, 0x400, v60
	v_add_nc_u32_e32 v1, 0x800, v60
	;; [unrolled: 1-line block ×3, first 2 shown]
	ds_load_2addr_b64 v[32:35], v60 offset1:56
	ds_load_2addr_b64 v[46:49], v60 offset0:112 offset1:168
	ds_load_2addr_b64 v[42:45], v0 offset0:96 offset1:152
	;; [unrolled: 1-line block ×5, first 2 shown]
	ds_load_b64 v[51:52], v60 offset:5376
.LBB0_15:
	s_wait_alu 0xfffe
	s_or_b32 exec_lo, exec_lo, s1
	s_wait_dscnt 0x0
	v_dual_sub_f32 v76, v35, v52 :: v_dual_sub_f32 v67, v34, v51
	v_add_f32_e32 v84, v52, v35
	v_dual_sub_f32 v77, v47, v3 :: v_dual_sub_f32 v66, v46, v2
	s_delay_alu instid0(VALU_DEP_3) | instskip(NEXT) | instid1(VALU_DEP_3)
	v_mul_f32_e32 v55, 0xbe750f2a, v76
	v_dual_add_f32 v65, v2, v46 :: v_dual_mul_f32 v58, 0xbf788fa5, v84
	s_delay_alu instid0(VALU_DEP_3) | instskip(SKIP_1) | instid1(VALU_DEP_3)
	v_dual_add_f32 v85, v3, v47 :: v_dual_mul_f32 v56, 0x3eedf032, v77
	v_dual_sub_f32 v78, v49, v1 :: v_dual_add_f32 v87, v7, v43
	v_fmamk_f32 v37, v67, 0xbe750f2a, v58
	v_add_f32_e32 v64, v51, v34
	s_delay_alu instid0(VALU_DEP_4) | instskip(NEXT) | instid1(VALU_DEP_4)
	v_fma_f32 v69, 0x3f62ad3f, v65, -v56
	v_dual_add_f32 v86, v1, v49 :: v_dual_mul_f32 v57, 0xbf29c268, v78
	s_delay_alu instid0(VALU_DEP_4) | instskip(NEXT) | instid1(VALU_DEP_4)
	v_add_f32_e32 v37, v33, v37
	v_fma_f32 v36, 0xbf788fa5, v64, -v55
	v_mul_f32_e32 v90, 0x3f62ad3f, v85
	s_delay_alu instid0(VALU_DEP_4)
	v_dual_mul_f32 v92, 0xbf3f9e67, v86 :: v_dual_sub_f32 v79, v45, v5
	global_wb scope:SCOPE_SE
	v_add_f32_e32 v36, v32, v36
	s_barrier_signal -1
	v_sub_f32_e32 v71, v42, v6
	s_barrier_wait -1
	global_inv scope:SCOPE_SE
	v_add_f32_e32 v36, v69, v36
	v_dual_sub_f32 v69, v48, v0 :: v_dual_sub_f32 v80, v43, v7
	v_add_f32_e32 v83, v5, v45
	v_mul_f32_e32 v93, 0x3f116cb1, v87
	v_sub_f32_e32 v75, v38, v40
	s_delay_alu instid0(VALU_DEP_4) | instskip(SKIP_4) | instid1(VALU_DEP_4)
	v_fmamk_f32 v73, v69, 0xbf29c268, v92
	v_fmamk_f32 v70, v66, 0x3eedf032, v90
	v_add_f32_e32 v68, v0, v48
	v_mul_f32_e32 v88, 0x3f52af12, v80
	v_mul_f32_e32 v94, 0xbeb58ec6, v83
	v_dual_fmamk_f32 v74, v71, 0x3f52af12, v93 :: v_dual_add_f32 v37, v70, v37
	s_delay_alu instid0(VALU_DEP_4) | instskip(SKIP_2) | instid1(VALU_DEP_3)
	v_fma_f32 v72, 0xbf3f9e67, v68, -v57
	v_dual_add_f32 v70, v6, v42 :: v_dual_mul_f32 v91, 0xbf6f5d39, v79
	v_sub_f32_e32 v81, v39, v41
	v_dual_add_f32 v37, v73, v37 :: v_dual_add_f32 v36, v72, v36
	s_delay_alu instid0(VALU_DEP_3) | instskip(NEXT) | instid1(VALU_DEP_3)
	v_fma_f32 v73, 0x3f116cb1, v70, -v88
	v_dual_add_f32 v82, v41, v39 :: v_dual_mul_f32 v89, 0x3f7e222b, v81
	s_delay_alu instid0(VALU_DEP_2) | instskip(SKIP_2) | instid1(VALU_DEP_2)
	v_add_f32_e32 v36, v73, v36
	v_sub_f32_e32 v73, v44, v4
	v_dual_add_f32 v72, v4, v44 :: v_dual_add_f32 v37, v74, v37
	v_dual_add_f32 v74, v40, v38 :: v_dual_fmamk_f32 v97, v73, 0xbf6f5d39, v94
	s_delay_alu instid0(VALU_DEP_2) | instskip(NEXT) | instid1(VALU_DEP_1)
	v_fma_f32 v96, 0xbeb58ec6, v72, -v91
	v_dual_mul_f32 v95, 0x3df6dbef, v82 :: v_dual_add_f32 v36, v96, v36
	s_delay_alu instid0(VALU_DEP_3) | instskip(NEXT) | instid1(VALU_DEP_4)
	v_fma_f32 v96, 0x3df6dbef, v74, -v89
	v_add_f32_e32 v37, v97, v37
	s_delay_alu instid0(VALU_DEP_2) | instskip(NEXT) | instid1(VALU_DEP_1)
	v_dual_fmamk_f32 v97, v75, 0x3f7e222b, v95 :: v_dual_add_f32 v36, v96, v36
	v_add_f32_e32 v37, v97, v37
	s_and_saveexec_b32 s1, vcc_lo
	s_cbranch_execz .LBB0_17
; %bb.16:
	v_mul_f32_e32 v102, 0x3f52af12, v71
	v_mul_f32_e32 v96, 0xbe750f2a, v67
	v_dual_mul_f32 v106, 0xbf6f5d39, v81 :: v_dual_mul_f32 v107, 0xbf6f5d39, v76
	v_mul_f32_e32 v109, 0x3f29c268, v77
	s_delay_alu instid0(VALU_DEP_4) | instskip(NEXT) | instid1(VALU_DEP_4)
	v_sub_f32_e32 v93, v93, v102
	v_dual_mul_f32 v99, 0x3eedf032, v66 :: v_dual_sub_f32 v58, v58, v96
	v_mul_f32_e32 v97, 0xbf788fa5, v64
	s_delay_alu instid0(VALU_DEP_4) | instskip(NEXT) | instid1(VALU_DEP_3)
	v_dual_mul_f32 v104, 0xbf3f9e67, v85 :: v_dual_fmamk_f32 v111, v65, 0xbf3f9e67, v109
	v_sub_f32_e32 v90, v90, v99
	s_delay_alu instid0(VALU_DEP_3) | instskip(SKIP_2) | instid1(VALU_DEP_3)
	v_dual_mul_f32 v98, 0x3f62ad3f, v65 :: v_dual_add_f32 v55, v97, v55
	v_mul_f32_e32 v100, 0xbf3f9e67, v68
	v_dual_add_f32 v58, v33, v58 :: v_dual_mul_f32 v99, 0xbeb58ec6, v72
	v_dual_add_f32 v56, v98, v56 :: v_dual_add_f32 v55, v32, v55
	v_mul_f32_e32 v96, 0xbf29c268, v69
	s_delay_alu instid0(VALU_DEP_4) | instskip(NEXT) | instid1(VALU_DEP_4)
	v_add_f32_e32 v57, v100, v57
	v_dual_mul_f32 v103, 0xbf6f5d39, v73 :: v_dual_add_f32 v58, v90, v58
	s_delay_alu instid0(VALU_DEP_4) | instskip(NEXT) | instid1(VALU_DEP_4)
	v_add_f32_e32 v55, v56, v55
	v_dual_mul_f32 v101, 0x3f116cb1, v70 :: v_dual_sub_f32 v92, v92, v96
	v_mul_f32_e32 v90, 0x3df6dbef, v74
	s_delay_alu instid0(VALU_DEP_3) | instskip(NEXT) | instid1(VALU_DEP_3)
	v_dual_mul_f32 v102, 0xbeb58ec6, v84 :: v_dual_add_f32 v55, v57, v55
	v_add_f32_e32 v88, v101, v88
	s_delay_alu instid0(VALU_DEP_4)
	v_add_f32_e32 v58, v92, v58
	v_mul_f32_e32 v92, 0xbf3f9e67, v84
	v_mul_f32_e32 v97, 0x3f7e222b, v77
	v_mul_f32_e32 v101, 0xbeb58ec6, v82
	v_add_f32_e32 v55, v88, v55
	v_add_f32_e32 v88, v99, v91
	v_dual_fmamk_f32 v57, v67, 0x3f29c268, v92 :: v_dual_sub_f32 v56, v94, v103
	v_mul_f32_e32 v94, 0x3df6dbef, v85
	v_mul_f32_e32 v99, 0xbf52af12, v78
	s_delay_alu instid0(VALU_DEP_4) | instskip(SKIP_1) | instid1(VALU_DEP_4)
	v_dual_add_f32 v55, v88, v55 :: v_dual_add_f32 v58, v93, v58
	v_mul_f32_e32 v93, 0x3f7e222b, v75
	v_fmamk_f32 v91, v66, 0xbf7e222b, v94
	v_add_f32_e32 v57, v33, v57
	v_add_f32_e32 v88, v90, v89
	;; [unrolled: 1-line block ×3, first 2 shown]
	v_dual_sub_f32 v58, v95, v93 :: v_dual_mul_f32 v95, 0xbf29c268, v76
	v_mul_f32_e32 v93, 0x3f116cb1, v86
	v_add_f32_e32 v57, v91, v57
	v_mul_f32_e32 v127, 0x3f116cb1, v84
	s_delay_alu instid0(VALU_DEP_4) | instskip(SKIP_2) | instid1(VALU_DEP_4)
	v_dual_mul_f32 v128, 0xbf3f9e67, v82 :: v_dual_fmamk_f32 v89, v64, 0xbf3f9e67, v95
	v_add_f32_e32 v56, v58, v56
	v_dual_fmamk_f32 v58, v69, 0x3f52af12, v93 :: v_dual_add_f32 v55, v88, v55
	v_fmamk_f32 v129, v67, 0x3f52af12, v127
	s_delay_alu instid0(VALU_DEP_4) | instskip(NEXT) | instid1(VALU_DEP_3)
	v_dual_add_f32 v89, v32, v89 :: v_dual_mul_f32 v96, 0xbf788fa5, v87
	v_dual_add_f32 v57, v58, v57 :: v_dual_mul_f32 v120, 0xbf7e222b, v76
	s_delay_alu instid0(VALU_DEP_3) | instskip(SKIP_1) | instid1(VALU_DEP_4)
	v_add_f32_e32 v129, v33, v129
	v_fmamk_f32 v131, v75, 0x3f29c268, v128
	v_fmamk_f32 v58, v71, 0xbe750f2a, v96
	v_mul_f32_e32 v98, 0x3f62ad3f, v83
	v_fmamk_f32 v122, v64, 0x3df6dbef, v120
	v_mul_f32_e32 v117, 0xbf788fa5, v85
	v_mul_f32_e32 v115, 0x3e750f2a, v79
	s_delay_alu instid0(VALU_DEP_4)
	v_dual_add_f32 v57, v58, v57 :: v_dual_fmamk_f32 v58, v73, 0xbeedf032, v98
	v_fmamk_f32 v90, v65, 0x3df6dbef, v97
	v_mul_f32_e32 v103, 0x3eedf032, v79
	v_mul_f32_e32 v119, 0x3f52af12, v81
	;; [unrolled: 1-line block ×3, first 2 shown]
	v_add_f32_e32 v57, v58, v57
	v_dual_add_f32 v88, v90, v89 :: v_dual_fmamk_f32 v89, v68, 0x3f116cb1, v99
	v_fmamk_f32 v90, v67, 0x3f6f5d39, v102
	v_mul_f32_e32 v100, 0x3e750f2a, v80
	v_fmamk_f32 v121, v74, 0x3f116cb1, v119
	v_dual_mul_f32 v126, 0x3f6f5d39, v78 :: v_dual_fmamk_f32 v133, v66, 0x3f6f5d39, v130
	v_add_f32_e32 v58, v89, v88
	s_delay_alu instid0(VALU_DEP_4) | instskip(SKIP_3) | instid1(VALU_DEP_4)
	v_fmamk_f32 v88, v70, 0xbf788fa5, v100
	v_fmamk_f32 v89, v75, 0x3f6f5d39, v101
	;; [unrolled: 1-line block ×3, first 2 shown]
	v_mul_f32_e32 v118, 0xbeb58ec6, v86
	v_dual_mul_f32 v143, 0x3f116cb1, v85 :: v_dual_add_f32 v88, v88, v58
	s_delay_alu instid0(VALU_DEP_4) | instskip(SKIP_4) | instid1(VALU_DEP_3)
	v_add_f32_e32 v58, v89, v57
	v_add_f32_e32 v57, v33, v90
	v_fmamk_f32 v89, v66, 0xbf29c268, v104
	v_fmamk_f32 v90, v74, 0xbeb58ec6, v106
	v_dual_add_f32 v88, v91, v88 :: v_dual_fmamk_f32 v91, v64, 0xbeb58ec6, v107
	v_dual_mul_f32 v110, 0xbf788fa5, v83 :: v_dual_add_f32 v57, v89, v57
	v_fmamk_f32 v144, v66, 0x3f52af12, v143
	v_mul_f32_e32 v137, 0x3df6dbef, v83
	s_delay_alu instid0(VALU_DEP_4)
	v_add_f32_e32 v91, v32, v91
	v_mul_f32_e32 v105, 0x3f62ad3f, v86
	v_mul_f32_e32 v124, 0x3f116cb1, v83
	v_add_f32_e32 v122, v32, v122
	v_mul_f32_e32 v134, 0xbf788fa5, v86
	v_mul_f32_e32 v86, 0x3df6dbef, v86
	v_fmamk_f32 v89, v69, 0xbeedf032, v105
	v_add_f32_e32 v129, v133, v129
	v_mul_f32_e32 v133, 0xbf29c268, v81
	v_dual_add_f32 v35, v35, v33 :: v_dual_add_f32 v34, v34, v32
	s_delay_alu instid0(VALU_DEP_4) | instskip(NEXT) | instid1(VALU_DEP_2)
	v_dual_add_f32 v57, v89, v57 :: v_dual_mul_f32 v108, 0x3df6dbef, v87
	v_dual_fmamk_f32 v140, v74, 0xbf3f9e67, v133 :: v_dual_add_f32 v35, v47, v35
	v_mul_f32_e32 v47, 0xbf3f9e67, v83
	v_mul_f32_e32 v141, 0x3f29c268, v80
	s_delay_alu instid0(VALU_DEP_4) | instskip(NEXT) | instid1(VALU_DEP_4)
	v_dual_fmamk_f32 v89, v71, 0x3f7e222b, v108 :: v_dual_add_f32 v34, v46, v34
	v_add_f32_e32 v35, v49, v35
	s_delay_alu instid0(VALU_DEP_4) | instskip(NEXT) | instid1(VALU_DEP_3)
	v_fmamk_f32 v46, v73, 0x3f29c268, v47
	v_dual_fmac_f32 v92, 0xbf29c268, v67 :: v_dual_add_f32 v89, v89, v57
	v_add_f32_e32 v57, v90, v88
	v_fmamk_f32 v113, v73, 0xbe750f2a, v110
	v_mul_f32_e32 v112, 0x3eedf032, v78
	v_dual_add_f32 v88, v111, v91 :: v_dual_mul_f32 v111, 0xbf7e222b, v80
	s_delay_alu instid0(VALU_DEP_3) | instskip(SKIP_3) | instid1(VALU_DEP_4)
	v_dual_add_f32 v34, v48, v34 :: v_dual_add_f32 v89, v113, v89
	v_mul_f32_e32 v113, 0x3f116cb1, v82
	v_fmac_f32_e32 v94, 0x3f7e222b, v66
	v_fmac_f32_e32 v96, 0x3e750f2a, v71
	v_add_f32_e32 v34, v42, v34
	v_mul_f32_e32 v42, 0xbf7e222b, v78
	v_fmamk_f32 v91, v75, 0xbf52af12, v113
	v_dual_fmamk_f32 v90, v68, 0x3f62ad3f, v112 :: v_dual_add_f32 v35, v43, v35
	s_delay_alu instid0(VALU_DEP_4) | instskip(NEXT) | instid1(VALU_DEP_3)
	v_add_f32_e32 v34, v44, v34
	v_dual_mul_f32 v44, 0xbf6f5d39, v80 :: v_dual_add_f32 v89, v91, v89
	s_delay_alu instid0(VALU_DEP_3) | instskip(SKIP_1) | instid1(VALU_DEP_4)
	v_add_f32_e32 v88, v90, v88
	v_fmamk_f32 v90, v70, 0x3df6dbef, v111
	v_dual_add_f32 v34, v38, v34 :: v_dual_add_f32 v35, v45, v35
	v_fmac_f32_e32 v102, 0xbf6f5d39, v67
	s_delay_alu instid0(VALU_DEP_3) | instskip(SKIP_1) | instid1(VALU_DEP_4)
	v_dual_fmac_f32 v101, 0xbf6f5d39, v75 :: v_dual_add_f32 v88, v90, v88
	v_fmamk_f32 v90, v72, 0xbf788fa5, v115
	v_dual_add_f32 v34, v40, v34 :: v_dual_add_f32 v35, v39, v35
	v_fmamk_f32 v39, v68, 0x3df6dbef, v42
	s_delay_alu instid0(VALU_DEP_3) | instskip(NEXT) | instid1(VALU_DEP_3)
	v_dual_fmac_f32 v113, 0x3f52af12, v75 :: v_dual_add_f32 v88, v90, v88
	v_dual_mul_f32 v123, 0xbe750f2a, v77 :: v_dual_add_f32 v4, v4, v34
	v_mul_f32_e32 v45, 0xbf788fa5, v82
	v_add_f32_e32 v41, v41, v35
	s_delay_alu instid0(VALU_DEP_4) | instskip(NEXT) | instid1(VALU_DEP_4)
	v_add_f32_e32 v88, v121, v88
	v_fmamk_f32 v125, v65, 0xbf788fa5, v123
	v_mul_f32_e32 v114, 0x3df6dbef, v84
	s_delay_alu instid0(VALU_DEP_4) | instskip(SKIP_1) | instid1(VALU_DEP_4)
	v_dual_add_f32 v4, v6, v4 :: v_dual_add_f32 v5, v5, v41
	v_fmac_f32_e32 v104, 0x3f29c268, v66
	v_dual_add_f32 v121, v125, v122 :: v_dual_fmamk_f32 v122, v68, 0xbeb58ec6, v126
	s_delay_alu instid0(VALU_DEP_4) | instskip(SKIP_3) | instid1(VALU_DEP_4)
	v_fmamk_f32 v116, v67, 0x3f7e222b, v114
	v_mul_f32_e32 v125, 0x3eedf032, v80
	v_add_f32_e32 v5, v7, v5
	v_dual_add_f32 v7, v33, v92 :: v_dual_mul_f32 v40, 0xbe750f2a, v81
	v_dual_add_f32 v91, v33, v116 :: v_dual_fmamk_f32 v116, v66, 0x3e750f2a, v117
	s_delay_alu instid0(VALU_DEP_3) | instskip(NEXT) | instid1(VALU_DEP_3)
	v_add_f32_e32 v1, v1, v5
	v_dual_add_f32 v5, v94, v7 :: v_dual_add_f32 v0, v0, v4
	s_delay_alu instid0(VALU_DEP_3) | instskip(SKIP_1) | instid1(VALU_DEP_4)
	v_dual_fmac_f32 v93, 0xbf52af12, v69 :: v_dual_add_f32 v90, v116, v91
	v_fmamk_f32 v91, v69, 0xbf6f5d39, v118
	v_dual_mul_f32 v116, 0x3f62ad3f, v87 :: v_dual_add_f32 v1, v3, v1
	s_delay_alu instid0(VALU_DEP_3) | instskip(NEXT) | instid1(VALU_DEP_3)
	v_dual_add_f32 v0, v2, v0 :: v_dual_add_f32 v3, v93, v5
	v_add_f32_e32 v90, v91, v90
	s_delay_alu instid0(VALU_DEP_3) | instskip(SKIP_1) | instid1(VALU_DEP_4)
	v_fmamk_f32 v91, v71, 0xbeedf032, v116
	v_fma_f32 v4, 0xbf3f9e67, v64, -v95
	v_dual_add_f32 v0, v51, v0 :: v_dual_fmamk_f32 v7, v74, 0xbf788fa5, v40
	v_add_f32_e32 v2, v96, v3
	s_delay_alu instid0(VALU_DEP_4) | instskip(NEXT) | instid1(VALU_DEP_4)
	v_dual_add_f32 v90, v91, v90 :: v_dual_fmamk_f32 v91, v73, 0x3f52af12, v124
	v_dual_fmac_f32 v98, 0x3eedf032, v73 :: v_dual_add_f32 v3, v32, v4
	v_add_f32_e32 v1, v52, v1
	v_fma_f32 v4, 0x3df6dbef, v65, -v97
	s_delay_alu instid0(VALU_DEP_4) | instskip(NEXT) | instid1(VALU_DEP_4)
	v_add_f32_e32 v90, v91, v90
	v_add_f32_e32 v2, v98, v2
	;; [unrolled: 1-line block ×3, first 2 shown]
	v_fmamk_f32 v121, v70, 0x3f62ad3f, v125
	v_mul_f32_e32 v122, 0xbf52af12, v79
	v_fma_f32 v5, 0x3f116cb1, v68, -v99
	v_fmac_f32_e32 v105, 0x3eedf032, v69
	v_fma_f32 v40, 0xbf788fa5, v74, -v40
	s_delay_alu instid0(VALU_DEP_4) | instskip(SKIP_3) | instid1(VALU_DEP_4)
	v_dual_add_f32 v121, v121, v91 :: v_dual_fmamk_f32 v132, v72, 0x3f116cb1, v122
	v_add_f32_e32 v91, v131, v90
	v_fmamk_f32 v131, v69, 0x3e750f2a, v134
	v_fmac_f32_e32 v134, 0xbe750f2a, v69
	v_dual_fmac_f32 v127, 0xbf52af12, v67 :: v_dual_add_f32 v90, v132, v121
	v_mul_f32_e32 v121, 0xbf52af12, v76
	s_delay_alu instid0(VALU_DEP_4) | instskip(SKIP_1) | instid1(VALU_DEP_4)
	v_dual_add_f32 v129, v131, v129 :: v_dual_mul_f32 v132, 0xbf3f9e67, v87
	v_mul_f32_e32 v76, 0xbeedf032, v76
	v_add_f32_e32 v90, v140, v90
	s_delay_alu instid0(VALU_DEP_4)
	v_fmamk_f32 v135, v64, 0x3f116cb1, v121
	v_mul_f32_e32 v140, 0x3f62ad3f, v82
	v_fmamk_f32 v131, v71, 0xbf29c268, v132
	v_fmamk_f32 v49, v64, 0x3f62ad3f, v76
	v_mul_f32_e32 v139, 0xbe750f2a, v78
	v_dual_add_f32 v135, v32, v135 :: v_dual_mul_f32 v136, 0xbf6f5d39, v77
	s_delay_alu instid0(VALU_DEP_4) | instskip(SKIP_2) | instid1(VALU_DEP_4)
	v_add_f32_e32 v129, v131, v129
	v_fmamk_f32 v131, v73, 0xbf7e222b, v137
	v_fmamk_f32 v145, v75, 0xbeedf032, v140
	v_dual_mul_f32 v87, 0xbeb58ec6, v87 :: v_dual_fmamk_f32 v138, v65, 0xbeb58ec6, v136
	v_mul_f32_e32 v77, 0xbf52af12, v77
	s_delay_alu instid0(VALU_DEP_4) | instskip(SKIP_4) | instid1(VALU_DEP_4)
	v_add_f32_e32 v129, v131, v129
	v_mul_f32_e32 v131, 0x3f62ad3f, v84
	v_fmac_f32_e32 v140, 0x3eedf032, v75
	v_dual_add_f32 v135, v138, v135 :: v_dual_fmamk_f32 v138, v68, 0xbf788fa5, v139
	v_fmamk_f32 v48, v65, 0x3f116cb1, v77
	v_fmamk_f32 v142, v67, 0x3eedf032, v131
	v_fmac_f32_e32 v128, 0xbf29c268, v75
	v_fmac_f32_e32 v110, 0x3e750f2a, v73
	v_add_f32_e32 v84, v138, v135
	s_delay_alu instid0(VALU_DEP_4) | instskip(SKIP_2) | instid1(VALU_DEP_3)
	v_dual_fmamk_f32 v135, v70, 0xbf3f9e67, v141 :: v_dual_add_f32 v142, v33, v142
	v_fmac_f32_e32 v130, 0xbf6f5d39, v66
	v_dual_fmac_f32 v124, 0xbf52af12, v73 :: v_dual_fmac_f32 v143, 0xbf52af12, v66
	v_add_f32_e32 v84, v135, v84
	s_delay_alu instid0(VALU_DEP_4)
	v_add_f32_e32 v142, v144, v142
	v_fmamk_f32 v144, v69, 0x3f7e222b, v86
	v_mul_f32_e32 v138, 0x3f7e222b, v79
	v_fmac_f32_e32 v86, 0xbf7e222b, v69
	v_fmac_f32_e32 v117, 0xbe750f2a, v66
	;; [unrolled: 1-line block ×4, first 2 shown]
	v_fmamk_f32 v85, v72, 0x3df6dbef, v138
	s_delay_alu instid0(VALU_DEP_1) | instskip(SKIP_3) | instid1(VALU_DEP_2)
	v_dual_fmac_f32 v47, 0xbf29c268, v73 :: v_dual_add_f32 v84, v85, v84
	v_add_f32_e32 v85, v145, v129
	v_dual_add_f32 v129, v144, v142 :: v_dual_fmamk_f32 v142, v71, 0x3f6f5d39, v87
	v_fmac_f32_e32 v87, 0xbf6f5d39, v71
	v_add_f32_e32 v83, v142, v129
	s_delay_alu instid0(VALU_DEP_1) | instskip(NEXT) | instid1(VALU_DEP_1)
	v_dual_add_f32 v43, v46, v83 :: v_dual_add_f32 v46, v32, v49
	v_dual_mul_f32 v135, 0x3eedf032, v81 :: v_dual_add_f32 v46, v48, v46
	s_delay_alu instid0(VALU_DEP_1) | instskip(SKIP_4) | instid1(VALU_DEP_4)
	v_fmamk_f32 v146, v74, 0x3f62ad3f, v135
	v_fmamk_f32 v48, v75, 0x3e750f2a, v45
	v_fmac_f32_e32 v45, 0xbe750f2a, v75
	v_fmac_f32_e32 v132, 0x3f29c268, v71
	v_dual_add_f32 v38, v39, v46 :: v_dual_fmamk_f32 v39, v70, 0xbeb58ec6, v44
	v_add_f32_e32 v35, v48, v43
	v_fma_f32 v43, 0xbf788fa5, v65, -v123
	v_fmac_f32_e32 v108, 0xbf7e222b, v71
	v_fma_f32 v48, 0xbeb58ec6, v65, -v136
	v_dual_add_f32 v38, v39, v38 :: v_dual_mul_f32 v39, 0xbf29c268, v79
	v_fmac_f32_e32 v118, 0x3f6f5d39, v69
	v_add_f32_e32 v84, v146, v84
	s_delay_alu instid0(VALU_DEP_3) | instskip(NEXT) | instid1(VALU_DEP_1)
	v_fmamk_f32 v34, v72, 0xbf3f9e67, v39
	v_add_f32_e32 v6, v34, v38
	v_fma_f32 v38, 0x3df6dbef, v70, -v111
	s_delay_alu instid0(VALU_DEP_2) | instskip(SKIP_4) | instid1(VALU_DEP_4)
	v_add_f32_e32 v34, v7, v6
	v_add_f32_e32 v6, v33, v102
	v_dual_add_f32 v4, v4, v3 :: v_dual_add_f32 v3, v101, v2
	v_fma_f32 v2, 0xbeb58ec6, v64, -v107
	v_fma_f32 v7, 0xbf3f9e67, v65, -v109
	v_add_f32_e32 v6, v104, v6
	s_delay_alu instid0(VALU_DEP_4) | instskip(SKIP_4) | instid1(VALU_DEP_3)
	v_add_f32_e32 v4, v5, v4
	v_fma_f32 v5, 0xbf788fa5, v70, -v100
	v_add_f32_e32 v2, v32, v2
	v_fma_f32 v39, 0xbf3f9e67, v72, -v39
	v_add_f32_e32 v6, v105, v6
	v_add_f32_e32 v2, v7, v2
	v_fma_f32 v7, 0x3f62ad3f, v68, -v112
	v_add_f32_e32 v4, v5, v4
	v_fma_f32 v5, 0x3f62ad3f, v72, -v103
	v_add_f32_e32 v6, v108, v6
	s_delay_alu instid0(VALU_DEP_2) | instskip(SKIP_1) | instid1(VALU_DEP_1)
	v_dual_add_f32 v7, v7, v2 :: v_dual_add_f32 v4, v5, v4
	v_fma_f32 v5, 0xbeb58ec6, v74, -v106
	v_add_f32_e32 v2, v5, v4
	s_delay_alu instid0(VALU_DEP_4) | instskip(NEXT) | instid1(VALU_DEP_4)
	v_add_f32_e32 v4, v110, v6
	v_add_f32_e32 v6, v38, v7
	v_fma_f32 v7, 0xbf788fa5, v72, -v115
	s_delay_alu instid0(VALU_DEP_3) | instskip(SKIP_1) | instid1(VALU_DEP_3)
	v_add_f32_e32 v5, v113, v4
	v_fma_f32 v4, 0x3df6dbef, v64, -v120
	v_add_f32_e32 v6, v7, v6
	v_fma_f32 v7, 0x3f116cb1, v74, -v119
	s_delay_alu instid0(VALU_DEP_1) | instskip(NEXT) | instid1(VALU_DEP_1)
	v_dual_add_f32 v41, v32, v4 :: v_dual_add_f32 v4, v7, v6
	v_add_f32_e32 v7, v43, v41
	v_add_f32_e32 v41, v33, v127
	v_fma_f32 v43, 0x3f116cb1, v72, -v122
	s_delay_alu instid0(VALU_DEP_2) | instskip(NEXT) | instid1(VALU_DEP_1)
	v_dual_add_f32 v41, v130, v41 :: v_dual_fmac_f32 v114, 0xbf7e222b, v67
	v_dual_add_f32 v41, v134, v41 :: v_dual_add_f32 v38, v33, v114
	v_add_f32_e32 v33, v33, v131
	s_delay_alu instid0(VALU_DEP_2) | instskip(NEXT) | instid1(VALU_DEP_1)
	v_dual_add_f32 v41, v132, v41 :: v_dual_add_f32 v38, v117, v38
	v_dual_add_f32 v33, v143, v33 :: v_dual_add_f32 v6, v118, v38
	v_fma_f32 v38, 0xbeb58ec6, v68, -v126
	s_delay_alu instid0(VALU_DEP_2) | instskip(NEXT) | instid1(VALU_DEP_2)
	v_dual_add_f32 v33, v86, v33 :: v_dual_fmac_f32 v116, 0x3eedf032, v71
	v_add_f32_e32 v7, v38, v7
	s_delay_alu instid0(VALU_DEP_2) | instskip(SKIP_1) | instid1(VALU_DEP_2)
	v_dual_add_f32 v33, v87, v33 :: v_dual_add_f32 v6, v116, v6
	v_fma_f32 v38, 0x3f62ad3f, v70, -v125
	v_add_f32_e32 v6, v124, v6
	s_delay_alu instid0(VALU_DEP_1) | instskip(SKIP_1) | instid1(VALU_DEP_2)
	v_dual_add_f32 v38, v38, v7 :: v_dual_add_f32 v7, v128, v6
	v_fma_f32 v6, 0x3f116cb1, v64, -v121
	v_add_f32_e32 v38, v43, v38
	v_fma_f32 v43, 0xbf3f9e67, v74, -v133
	s_delay_alu instid0(VALU_DEP_3) | instskip(NEXT) | instid1(VALU_DEP_2)
	v_add_f32_e32 v46, v32, v6
	v_add_f32_e32 v6, v43, v38
	;; [unrolled: 1-line block ×3, first 2 shown]
	v_fma_f32 v41, 0x3f62ad3f, v64, -v76
	s_delay_alu instid0(VALU_DEP_4) | instskip(SKIP_1) | instid1(VALU_DEP_3)
	v_add_f32_e32 v43, v48, v46
	v_fma_f32 v46, 0xbf788fa5, v68, -v139
	v_add_f32_e32 v32, v32, v41
	v_fma_f32 v41, 0x3f116cb1, v65, -v77
	s_delay_alu instid0(VALU_DEP_3) | instskip(SKIP_1) | instid1(VALU_DEP_3)
	v_add_f32_e32 v43, v46, v43
	v_fma_f32 v46, 0xbf3f9e67, v70, -v141
	v_add_f32_e32 v32, v41, v32
	v_fma_f32 v41, 0x3df6dbef, v68, -v42
	s_delay_alu instid0(VALU_DEP_3) | instskip(SKIP_1) | instid1(VALU_DEP_3)
	;; [unrolled: 5-line block ×3, first 2 shown]
	v_add_f32_e32 v42, v43, v42
	v_dual_add_f32 v44, v47, v33 :: v_dual_and_b32 v43, 0xffff, v62
	v_dual_add_f32 v33, v140, v38 :: v_dual_add_f32 v32, v41, v32
	v_fma_f32 v41, 0x3f62ad3f, v74, -v135
	s_delay_alu instid0(VALU_DEP_2) | instskip(NEXT) | instid1(VALU_DEP_2)
	v_dual_add_f32 v46, v39, v32 :: v_dual_lshlrev_b32 v43, 3, v43
	v_add_f32_e32 v32, v41, v42
	s_delay_alu instid0(VALU_DEP_2)
	v_dual_add_f32 v39, v45, v44 :: v_dual_add_f32 v38, v40, v46
	ds_store_2addr_b64 v43, v[0:1], v[34:35] offset1:1
	ds_store_2addr_b64 v43, v[84:85], v[90:91] offset0:2 offset1:3
	ds_store_2addr_b64 v43, v[88:89], v[57:58] offset0:4 offset1:5
	;; [unrolled: 1-line block ×5, first 2 shown]
	ds_store_b64 v43, v[38:39] offset:96
.LBB0_17:
	s_wait_alu 0xfffe
	s_or_b32 exec_lo, exec_lo, s1
	global_wb scope:SCOPE_SE
	s_wait_dscnt 0x0
	s_barrier_signal -1
	s_barrier_wait -1
	global_inv scope:SCOPE_SE
	ds_load_b64 v[33:34], v60 offset:4992
	ds_load_2addr_b64 v[0:3], v60 offset1:104
	v_add_nc_u32_e32 v32, 0x400, v60
	s_wait_dscnt 0x1
	v_dual_mul_f32 v42, v11, v34 :: v_dual_add_nc_u32 v35, 0xc00, v60
	ds_load_2addr_b64 v[4:7], v32 offset0:80 offset1:184
	ds_load_2addr_b64 v[38:41], v35 offset0:32 offset1:136
	s_wait_dscnt 0x2
	v_mul_f32_e32 v35, v17, v3
	v_mul_f32_e32 v17, v17, v2
	global_wb scope:SCOPE_SE
	s_wait_dscnt 0x0
	v_fmac_f32_e32 v42, v10, v33
	s_barrier_signal -1
	v_fmac_f32_e32 v35, v16, v2
	v_fma_f32 v2, v16, v3, -v17
	v_mul_f32_e32 v11, v11, v33
	s_barrier_wait -1
	global_inv scope:SCOPE_SE
	v_fma_f32 v10, v10, v34, -v11
	v_mul_f32_e32 v3, v19, v5
	v_dual_mul_f32 v43, v9, v41 :: v_dual_mul_f32 v16, v19, v4
	v_mul_f32_e32 v17, v13, v7
	v_mul_f32_e32 v9, v9, v40
	s_delay_alu instid0(VALU_DEP_4) | instskip(NEXT) | instid1(VALU_DEP_4)
	v_fmac_f32_e32 v3, v18, v4
	v_fmac_f32_e32 v43, v8, v40
	v_mul_f32_e32 v13, v13, v6
	v_fma_f32 v4, v18, v5, -v16
	s_delay_alu instid0(VALU_DEP_2)
	v_fma_f32 v5, v12, v7, -v13
	v_fma_f32 v7, v8, v41, -v9
	v_add_f32_e32 v8, v35, v42
	v_add_f32_e32 v9, v2, v10
	v_sub_f32_e32 v2, v2, v10
	v_add_f32_e32 v10, v3, v43
	v_mul_f32_e32 v19, v15, v39
	v_mul_f32_e32 v15, v15, v38
	v_fmac_f32_e32 v17, v12, v6
	v_add_f32_e32 v12, v4, v7
	v_sub_f32_e32 v4, v4, v7
	v_sub_f32_e32 v16, v10, v8
	v_fma_f32 v6, v14, v39, -v15
	s_delay_alu instid0(VALU_DEP_1) | instskip(SKIP_2) | instid1(VALU_DEP_2)
	v_add_f32_e32 v13, v5, v6
	v_sub_f32_e32 v5, v6, v5
	v_add_f32_e32 v6, v10, v8
	v_dual_fmac_f32 v19, v14, v38 :: v_dual_sub_f32 v34, v5, v4
	s_delay_alu instid0(VALU_DEP_1) | instskip(SKIP_1) | instid1(VALU_DEP_2)
	v_dual_sub_f32 v14, v19, v17 :: v_dual_add_f32 v7, v17, v19
	v_dual_add_f32 v19, v5, v4 :: v_dual_sub_f32 v4, v4, v2
	v_sub_f32_e32 v8, v8, v7
	v_sub_f32_e32 v10, v7, v10
	;; [unrolled: 1-line block ×3, first 2 shown]
	s_delay_alu instid0(VALU_DEP_3) | instskip(NEXT) | instid1(VALU_DEP_2)
	v_dual_sub_f32 v11, v35, v42 :: v_dual_mul_f32 v8, 0x3f4a47b2, v8
	v_dual_add_f32 v15, v12, v9 :: v_dual_add_f32 v18, v14, v3
	s_delay_alu instid0(VALU_DEP_2) | instskip(SKIP_2) | instid1(VALU_DEP_3)
	v_dual_sub_f32 v33, v14, v3 :: v_dual_sub_f32 v14, v11, v14
	v_dual_add_f32 v6, v7, v6 :: v_dual_sub_f32 v17, v12, v9
	v_sub_f32_e32 v3, v3, v11
	v_dual_add_f32 v11, v18, v11 :: v_dual_mul_f32 v18, 0x3f08b237, v33
	s_delay_alu instid0(VALU_DEP_3) | instskip(SKIP_1) | instid1(VALU_DEP_2)
	v_dual_sub_f32 v9, v9, v13 :: v_dual_add_f32 v0, v0, v6
	v_dual_sub_f32 v12, v13, v12 :: v_dual_sub_f32 v5, v2, v5
	v_mul_f32_e32 v9, 0x3f4a47b2, v9
	s_delay_alu instid0(VALU_DEP_3)
	v_fmamk_f32 v6, v6, 0xbf955555, v0
	v_dual_add_f32 v2, v19, v2 :: v_dual_add_f32 v7, v13, v15
	v_dual_mul_f32 v13, 0x3d64c772, v10 :: v_dual_fmamk_f32 v10, v10, 0x3d64c772, v8
	v_fma_f32 v8, 0xbf3bfb3b, v16, -v8
	v_mul_f32_e32 v15, 0x3d64c772, v12
	v_mul_f32_e32 v19, 0x3f08b237, v34
	s_delay_alu instid0(VALU_DEP_4)
	v_fma_f32 v13, 0x3f3bfb3b, v16, -v13
	v_dual_fmamk_f32 v16, v14, 0xbeae86e6, v18 :: v_dual_add_f32 v1, v1, v7
	v_fmamk_f32 v12, v12, 0x3d64c772, v9
	v_mul_f32_e32 v34, 0xbf5ff5aa, v4
	v_fma_f32 v15, 0x3f3bfb3b, v17, -v15
	v_fma_f32 v9, 0xbf3bfb3b, v17, -v9
	v_fmamk_f32 v7, v7, 0xbf955555, v1
	v_fma_f32 v18, 0xbf5ff5aa, v3, -v18
	s_delay_alu instid0(VALU_DEP_2) | instskip(SKIP_1) | instid1(VALU_DEP_1)
	v_dual_add_f32 v12, v12, v7 :: v_dual_fmamk_f32 v17, v5, 0xbeae86e6, v19
	v_fma_f32 v19, 0xbf5ff5aa, v4, -v19
	v_fmac_f32_e32 v19, 0xbee1c552, v2
	v_mul_f32_e32 v33, 0xbf5ff5aa, v3
	s_delay_alu instid0(VALU_DEP_1) | instskip(SKIP_4) | instid1(VALU_DEP_4)
	v_fma_f32 v14, 0x3eae86e6, v14, -v33
	v_fma_f32 v33, 0x3eae86e6, v5, -v34
	v_add_f32_e32 v34, v10, v6
	v_add_f32_e32 v10, v13, v6
	v_dual_fmac_f32 v17, 0xbee1c552, v2 :: v_dual_fmac_f32 v18, 0xbee1c552, v11
	v_dual_fmac_f32 v16, 0xbee1c552, v11 :: v_dual_fmac_f32 v33, 0xbee1c552, v2
	v_fmac_f32_e32 v14, 0xbee1c552, v11
	s_delay_alu instid0(VALU_DEP_3) | instskip(SKIP_4) | instid1(VALU_DEP_3)
	v_add_f32_e32 v2, v17, v34
	v_dual_sub_f32 v34, v34, v17 :: v_dual_add_f32 v13, v15, v7
	v_add_f32_e32 v15, v8, v6
	v_add_f32_e32 v35, v9, v7
	v_dual_sub_f32 v3, v12, v16 :: v_dual_sub_f32 v6, v10, v19
	v_dual_add_f32 v7, v18, v13 :: v_dual_add_f32 v4, v33, v15
	s_delay_alu instid0(VALU_DEP_3)
	v_sub_f32_e32 v5, v35, v14
	v_add_f32_e32 v8, v19, v10
	v_dual_sub_f32 v9, v13, v18 :: v_dual_sub_f32 v10, v15, v33
	v_add_f32_e32 v11, v14, v35
	v_add_f32_e32 v35, v16, v12
	ds_store_2addr_b64 v63, v[0:1], v[2:3] offset1:13
	ds_store_2addr_b64 v63, v[4:5], v[6:7] offset0:26 offset1:39
	ds_store_2addr_b64 v63, v[8:9], v[10:11] offset0:52 offset1:65
	ds_store_b64 v63, v[34:35] offset:624
	global_wb scope:SCOPE_SE
	s_wait_dscnt 0x0
	s_barrier_signal -1
	s_barrier_wait -1
	global_inv scope:SCOPE_SE
	s_and_saveexec_b32 s1, s0
	s_cbranch_execz .LBB0_19
; %bb.18:
	v_add_nc_u32_e32 v8, 0x800, v60
	v_add_nc_u32_e32 v12, 0x1000, v60
	ds_load_2addr_b64 v[0:3], v60 offset1:91
	ds_load_2addr_b64 v[4:7], v32 offset0:54 offset1:145
	ds_load_2addr_b64 v[8:11], v8 offset0:108 offset1:199
	;; [unrolled: 1-line block ×3, first 2 shown]
.LBB0_19:
	s_wait_alu 0xfffe
	s_or_b32 exec_lo, exec_lo, s1
	s_and_saveexec_b32 s1, s0
	s_cbranch_execz .LBB0_21
; %bb.20:
	s_wait_dscnt 0x1
	v_dual_mul_f32 v12, v23, v8 :: v_dual_mul_f32 v15, v25, v2
	v_mul_f32_e32 v16, v29, v10
	s_wait_dscnt 0x0
	v_mul_f32_e32 v14, v31, v35
	v_mul_f32_e32 v13, v27, v5
	v_fma_f32 v12, v22, v9, -v12
	v_fma_f32 v15, v24, v3, -v15
	v_dual_mul_f32 v17, v21, v7 :: v_dual_mul_f32 v18, v54, v37
	v_mul_f32_e32 v19, v21, v6
	v_mul_f32_e32 v21, v54, v36
	v_fma_f32 v16, v28, v11, -v16
	v_fmac_f32_e32 v14, v30, v34
	v_fmac_f32_e32 v13, v26, v4
	v_dual_sub_f32 v12, v1, v12 :: v_dual_fmac_f32 v17, v20, v6
	s_delay_alu instid0(VALU_DEP_4)
	v_sub_f32_e32 v16, v15, v16
	v_fma_f32 v6, v20, v7, -v19
	v_dual_mul_f32 v19, v25, v3 :: v_dual_mul_f32 v4, v27, v4
	v_dual_sub_f32 v14, v13, v14 :: v_dual_mul_f32 v9, v23, v9
	v_fmac_f32_e32 v18, v53, v36
	v_fma_f32 v7, v53, v37, -v21
	s_delay_alu instid0(VALU_DEP_4)
	v_fma_f32 v4, v26, v5, -v4
	v_mul_f32_e32 v3, v29, v11
	v_mul_f32_e32 v11, v31, v34
	v_fma_f32 v13, v13, 2.0, -v14
	v_sub_f32_e32 v7, v6, v7
	v_fmac_f32_e32 v19, v24, v2
	v_fmac_f32_e32 v3, v28, v10
	v_fma_f32 v2, v30, v35, -v11
	v_fmac_f32_e32 v9, v22, v8
	v_sub_f32_e32 v11, v12, v14
	v_fma_f32 v22, v1, 2.0, -v12
	v_sub_f32_e32 v8, v19, v3
	v_sub_f32_e32 v10, v4, v2
	;; [unrolled: 1-line block ×3, first 2 shown]
	v_fma_f32 v14, v15, 2.0, -v16
	v_fma_f32 v12, v12, 2.0, -v11
	v_add_f32_e32 v20, v7, v8
	v_fma_f32 v1, v4, 2.0, -v10
	v_add_f32_e32 v21, v10, v9
	v_sub_f32_e32 v5, v17, v18
	v_fma_f32 v10, v19, 2.0, -v8
	v_fma_f32 v15, v8, 2.0, -v20
	s_delay_alu instid0(VALU_DEP_4) | instskip(NEXT) | instid1(VALU_DEP_4)
	v_fmamk_f32 v2, v20, 0x3f3504f3, v21
	v_sub_f32_e32 v18, v16, v5
	v_fma_f32 v4, v17, 2.0, -v5
	v_fma_f32 v6, v6, 2.0, -v7
	v_sub_f32_e32 v17, v22, v1
	s_delay_alu instid0(VALU_DEP_4) | instskip(SKIP_2) | instid1(VALU_DEP_3)
	v_dual_fmamk_f32 v3, v18, 0x3f3504f3, v11 :: v_dual_fmac_f32 v2, 0x3f3504f3, v18
	v_fma_f32 v0, v0, 2.0, -v9
	v_sub_f32_e32 v19, v10, v4
	v_dual_sub_f32 v6, v14, v6 :: v_dual_fmac_f32 v3, 0xbf3504f3, v20
	s_delay_alu instid0(VALU_DEP_3) | instskip(NEXT) | instid1(VALU_DEP_3)
	v_sub_f32_e32 v13, v0, v13
	v_fma_f32 v10, v10, 2.0, -v19
	s_delay_alu instid0(VALU_DEP_3) | instskip(NEXT) | instid1(VALU_DEP_4)
	v_fma_f32 v14, v14, 2.0, -v6
	v_fma_f32 v5, v11, 2.0, -v3
	v_fma_f32 v11, v16, 2.0, -v18
	v_fma_f32 v18, v0, 2.0, -v13
	v_sub_f32_e32 v1, v17, v19
	v_add_f32_e32 v0, v13, v6
	v_fma_f32 v16, v9, 2.0, -v21
	s_delay_alu instid0(VALU_DEP_4) | instskip(NEXT) | instid1(VALU_DEP_4)
	v_dual_fmamk_f32 v9, v11, 0xbf3504f3, v12 :: v_dual_sub_f32 v10, v18, v10
	v_fma_f32 v7, v17, 2.0, -v1
	v_fma_f32 v17, v22, 2.0, -v17
	s_delay_alu instid0(VALU_DEP_3) | instskip(SKIP_2) | instid1(VALU_DEP_3)
	v_dual_fmamk_f32 v8, v15, 0xbf3504f3, v16 :: v_dual_fmac_f32 v9, 0xbf3504f3, v15
	v_fma_f32 v6, v13, 2.0, -v0
	v_fma_f32 v4, v21, 2.0, -v2
	v_dual_fmac_f32 v8, 0x3f3504f3, v11 :: v_dual_sub_f32 v11, v17, v14
	s_delay_alu instid0(VALU_DEP_4) | instskip(SKIP_2) | instid1(VALU_DEP_4)
	v_fma_f32 v13, v12, 2.0, -v9
	v_fma_f32 v14, v18, 2.0, -v10
	v_add_nc_u32_e32 v18, 0x1000, v60
	v_fma_f32 v12, v16, 2.0, -v8
	v_fma_f32 v15, v17, 2.0, -v11
	v_add_nc_u32_e32 v16, 0x400, v60
	v_add_nc_u32_e32 v17, 0x800, v60
	ds_store_2addr_b64 v60, v[14:15], v[12:13] offset1:91
	ds_store_2addr_b64 v16, v[6:7], v[4:5] offset0:54 offset1:145
	ds_store_2addr_b64 v17, v[10:11], v[8:9] offset0:108 offset1:199
	ds_store_2addr_b64 v18, v[0:1], v[2:3] offset0:34 offset1:125
.LBB0_21:
	s_wait_alu 0xfffe
	s_or_b32 exec_lo, exec_lo, s1
	global_wb scope:SCOPE_SE
	s_wait_dscnt 0x0
	s_barrier_signal -1
	s_barrier_wait -1
	global_inv scope:SCOPE_SE
	s_and_b32 exec_lo, exec_lo, vcc_lo
	s_cbranch_execz .LBB0_23
; %bb.22:
	s_clause 0xc
	global_load_b64 v[24:25], v60, s[12:13]
	global_load_b64 v[26:27], v60, s[12:13] offset:448
	global_load_b64 v[28:29], v60, s[12:13] offset:896
	;; [unrolled: 1-line block ×12, first 2 shown]
	v_mad_co_u64_u32 v[4:5], null, s6, v50, 0
	v_mad_co_u64_u32 v[8:9], null, s4, v61, 0
	s_mov_b32 s2, 0x16816817
	s_mov_b32 s3, 0x3f568168
	s_mul_u64 s[0:1], s[4:5], 0x1c0
	v_add_nc_u32_e32 v12, 0x800, v60
	s_delay_alu instid0(VALU_DEP_3) | instskip(NEXT) | instid1(VALU_DEP_3)
	v_mov_b32_e32 v0, v5
	v_dual_mov_b32 v1, v9 :: v_dual_add_nc_u32 v16, 0xc00, v60
	s_delay_alu instid0(VALU_DEP_1) | instskip(NEXT) | instid1(VALU_DEP_1)
	v_mad_co_u64_u32 v[2:3], null, s7, v50, v[0:1]
	v_mad_co_u64_u32 v[6:7], null, s5, v61, v[1:2]
	v_mov_b32_e32 v5, v2
	ds_load_b64 v[50:51], v60
	ds_load_2addr_b64 v[0:3], v60 offset0:56 offset1:112
	v_add_nc_u32_e32 v20, 0x1000, v60
	ds_load_2addr_b64 v[16:19], v16 offset0:120 offset1:176
	v_lshlrev_b64_e32 v[10:11], 3, v[4:5]
	v_mov_b32_e32 v9, v6
	ds_load_2addr_b64 v[4:7], v60 offset0:168 offset1:224
	v_lshlrev_b64_e32 v[8:9], 3, v[8:9]
	v_add_co_u32 v75, vcc_lo, s8, v10
	v_add_co_ci_u32_e32 v76, vcc_lo, s9, v11, vcc_lo
	s_delay_alu instid0(VALU_DEP_2) | instskip(SKIP_1) | instid1(VALU_DEP_2)
	v_add_co_u32 v52, vcc_lo, v75, v8
	s_wait_alu 0xfffd
	v_add_co_ci_u32_e32 v53, vcc_lo, v76, v9, vcc_lo
	ds_load_2addr_b64 v[8:11], v12 offset0:24 offset1:80
	ds_load_2addr_b64 v[12:15], v12 offset0:136 offset1:192
	s_wait_alu 0xfffe
	v_add_co_u32 v54, vcc_lo, v52, s0
	s_wait_alu 0xfffd
	v_add_co_ci_u32_e32 v55, vcc_lo, s1, v53, vcc_lo
	s_delay_alu instid0(VALU_DEP_2) | instskip(SKIP_1) | instid1(VALU_DEP_2)
	v_add_co_u32 v56, vcc_lo, v54, s0
	s_wait_alu 0xfffd
	v_add_co_ci_u32_e32 v57, vcc_lo, s1, v55, vcc_lo
	s_delay_alu instid0(VALU_DEP_2) | instskip(SKIP_1) | instid1(VALU_DEP_2)
	;; [unrolled: 4-line block ×4, first 2 shown]
	v_add_co_u32 v64, vcc_lo, v62, s0
	s_wait_alu 0xfffd
	v_add_co_ci_u32_e32 v65, vcc_lo, s1, v63, vcc_lo
	s_wait_loadcnt_dscnt 0xc05
	v_mul_f32_e32 v58, v51, v25
	v_mul_f32_e32 v25, v50, v25
	ds_load_2addr_b64 v[20:23], v20 offset0:104 offset1:160
	s_wait_loadcnt_dscnt 0xa05
	v_dual_mul_f32 v66, v1, v27 :: v_dual_mul_f32 v67, v3, v29
	v_mul_f32_e32 v27, v0, v27
	s_wait_loadcnt_dscnt 0x903
	v_dual_mul_f32 v29, v2, v29 :: v_dual_mul_f32 v68, v5, v31
	v_dual_mul_f32 v31, v4, v31 :: v_dual_fmac_f32 v58, v50, v24
	s_wait_loadcnt_dscnt 0x702
	v_dual_mul_f32 v69, v7, v33 :: v_dual_mul_f32 v70, v9, v35
	s_wait_loadcnt_dscnt 0x501
	v_dual_mul_f32 v33, v6, v33 :: v_dual_mul_f32 v72, v13, v39
	v_mul_f32_e32 v35, v8, v35
	v_fma_f32 v24, v24, v51, -v25
	s_wait_loadcnt 0x3
	v_dual_mul_f32 v71, v11, v37 :: v_dual_mul_f32 v74, v17, v43
	v_mul_f32_e32 v37, v10, v37
	v_dual_mul_f32 v73, v15, v41 :: v_dual_fmac_f32 v66, v0, v26
	v_fma_f32 v25, v26, v1, -v27
	v_mul_f32_e32 v39, v12, v39
	v_fmac_f32_e32 v67, v2, v28
	v_fma_f32 v26, v28, v3, -v29
	v_dual_mul_f32 v41, v14, v41 :: v_dual_fmac_f32 v68, v4, v30
	v_fma_f32 v27, v30, v5, -v31
	v_mul_f32_e32 v43, v16, v43
	s_wait_loadcnt 0x2
	v_dual_mul_f32 v77, v19, v45 :: v_dual_fmac_f32 v70, v8, v34
	v_dual_mul_f32 v45, v18, v45 :: v_dual_fmac_f32 v72, v12, v38
	v_fmac_f32_e32 v69, v6, v32
	v_fma_f32 v28, v32, v7, -v33
	s_wait_loadcnt_dscnt 0x100
	v_mul_f32_e32 v78, v21, v47
	v_mul_f32_e32 v47, v20, v47
	s_wait_loadcnt 0x0
	v_dual_mul_f32 v79, v23, v49 :: v_dual_fmac_f32 v74, v16, v42
	s_delay_alu instid0(VALU_DEP_3)
	v_dual_mul_f32 v49, v22, v49 :: v_dual_fmac_f32 v78, v20, v46
	v_fma_f32 v29, v34, v9, -v35
	v_cvt_f64_f32_e32 v[0:1], v58
	v_cvt_f64_f32_e32 v[2:3], v24
	v_fmac_f32_e32 v71, v10, v36
	v_fma_f32 v30, v36, v11, -v37
	v_cvt_f64_f32_e32 v[4:5], v66
	v_cvt_f64_f32_e32 v[6:7], v25
	v_fma_f32 v31, v38, v13, -v39
	v_cvt_f64_f32_e32 v[8:9], v67
	v_cvt_f64_f32_e32 v[10:11], v26
	v_fmac_f32_e32 v73, v14, v40
	v_fma_f32 v34, v40, v15, -v41
	v_cvt_f64_f32_e32 v[12:13], v68
	v_cvt_f64_f32_e32 v[14:15], v27
	v_fma_f32 v38, v42, v17, -v43
	v_fmac_f32_e32 v77, v18, v44
	v_fma_f32 v42, v44, v19, -v45
	v_cvt_f64_f32_e32 v[16:17], v69
	v_cvt_f64_f32_e32 v[18:19], v28
	v_fma_f32 v46, v46, v21, -v47
	v_fmac_f32_e32 v79, v22, v48
	v_fma_f32 v50, v48, v23, -v49
	v_cvt_f64_f32_e32 v[20:21], v70
	v_cvt_f64_f32_e32 v[22:23], v29
	;; [unrolled: 1-line block ×16, first 2 shown]
	v_add_co_u32 v66, vcc_lo, v64, s0
	v_mul_f64_e32 v[0:1], s[2:3], v[0:1]
	v_mul_f64_e32 v[2:3], s[2:3], v[2:3]
	s_wait_alu 0xfffd
	v_add_co_ci_u32_e32 v67, vcc_lo, s1, v65, vcc_lo
	v_mul_f64_e32 v[4:5], s[2:3], v[4:5]
	v_mul_f64_e32 v[6:7], s[2:3], v[6:7]
	;; [unrolled: 1-line block ×4, first 2 shown]
	v_add_co_u32 v68, vcc_lo, v66, s0
	v_mul_f64_e32 v[12:13], s[2:3], v[12:13]
	v_mul_f64_e32 v[14:15], s[2:3], v[14:15]
	s_wait_alu 0xfffd
	v_add_co_ci_u32_e32 v69, vcc_lo, s1, v67, vcc_lo
	v_mad_co_u64_u32 v[72:73], null, s4, v59, 0
	v_mul_f64_e32 v[16:17], s[2:3], v[16:17]
	v_mul_f64_e32 v[18:19], s[2:3], v[18:19]
	s_delay_alu instid0(VALU_DEP_4)
	v_mad_co_u64_u32 v[70:71], null, 0x380, s4, v[68:69]
	v_mul_f64_e32 v[20:21], s[2:3], v[20:21]
	v_mul_f64_e32 v[22:23], s[2:3], v[22:23]
	;; [unrolled: 1-line block ×16, first 2 shown]
	v_dual_mov_b32 v58, v71 :: v_dual_mov_b32 v71, v73
	v_cvt_f32_f64_e32 v0, v[0:1]
	v_cvt_f32_f64_e32 v1, v[2:3]
	s_delay_alu instid0(VALU_DEP_3)
	v_mad_co_u64_u32 v[73:74], null, 0x380, s5, v[58:59]
	v_cvt_f32_f64_e32 v2, v[4:5]
	v_cvt_f32_f64_e32 v3, v[6:7]
	;; [unrolled: 1-line block ×24, first 2 shown]
	v_mad_co_u64_u32 v[26:27], null, s5, v59, v[71:72]
	v_mov_b32_e32 v71, v73
	s_delay_alu instid0(VALU_DEP_2) | instskip(SKIP_2) | instid1(VALU_DEP_3)
	v_mov_b32_e32 v73, v26
	v_add_co_u32 v26, vcc_lo, v70, s0
	s_wait_alu 0xfffd
	v_add_co_ci_u32_e32 v27, vcc_lo, s1, v71, vcc_lo
	s_delay_alu instid0(VALU_DEP_3) | instskip(NEXT) | instid1(VALU_DEP_3)
	v_lshlrev_b64_e32 v[28:29], 3, v[72:73]
	v_add_co_u32 v30, vcc_lo, v26, s0
	s_wait_alu 0xfffd
	s_delay_alu instid0(VALU_DEP_3) | instskip(NEXT) | instid1(VALU_DEP_3)
	v_add_co_ci_u32_e32 v31, vcc_lo, s1, v27, vcc_lo
	v_add_co_u32 v28, vcc_lo, v75, v28
	s_wait_alu 0xfffd
	v_add_co_ci_u32_e32 v29, vcc_lo, v76, v29, vcc_lo
	v_add_co_u32 v32, vcc_lo, v30, s0
	s_wait_alu 0xfffd
	v_add_co_ci_u32_e32 v33, vcc_lo, s1, v31, vcc_lo
	s_clause 0x4
	global_store_b64 v[52:53], v[0:1], off
	global_store_b64 v[54:55], v[2:3], off
	;; [unrolled: 1-line block ×13, first 2 shown]
.LBB0_23:
	s_nop 0
	s_sendmsg sendmsg(MSG_DEALLOC_VGPRS)
	s_endpgm
	.section	.rodata,"a",@progbits
	.p2align	6, 0x0
	.amdhsa_kernel bluestein_single_fwd_len728_dim1_sp_op_CI_CI
		.amdhsa_group_segment_fixed_size 5824
		.amdhsa_private_segment_fixed_size 0
		.amdhsa_kernarg_size 104
		.amdhsa_user_sgpr_count 2
		.amdhsa_user_sgpr_dispatch_ptr 0
		.amdhsa_user_sgpr_queue_ptr 0
		.amdhsa_user_sgpr_kernarg_segment_ptr 1
		.amdhsa_user_sgpr_dispatch_id 0
		.amdhsa_user_sgpr_private_segment_size 0
		.amdhsa_wavefront_size32 1
		.amdhsa_uses_dynamic_stack 0
		.amdhsa_enable_private_segment 0
		.amdhsa_system_sgpr_workgroup_id_x 1
		.amdhsa_system_sgpr_workgroup_id_y 0
		.amdhsa_system_sgpr_workgroup_id_z 0
		.amdhsa_system_sgpr_workgroup_info 0
		.amdhsa_system_vgpr_workitem_id 0
		.amdhsa_next_free_vgpr 147
		.amdhsa_next_free_sgpr 14
		.amdhsa_reserve_vcc 1
		.amdhsa_float_round_mode_32 0
		.amdhsa_float_round_mode_16_64 0
		.amdhsa_float_denorm_mode_32 3
		.amdhsa_float_denorm_mode_16_64 3
		.amdhsa_fp16_overflow 0
		.amdhsa_workgroup_processor_mode 1
		.amdhsa_memory_ordered 1
		.amdhsa_forward_progress 0
		.amdhsa_round_robin_scheduling 0
		.amdhsa_exception_fp_ieee_invalid_op 0
		.amdhsa_exception_fp_denorm_src 0
		.amdhsa_exception_fp_ieee_div_zero 0
		.amdhsa_exception_fp_ieee_overflow 0
		.amdhsa_exception_fp_ieee_underflow 0
		.amdhsa_exception_fp_ieee_inexact 0
		.amdhsa_exception_int_div_zero 0
	.end_amdhsa_kernel
	.text
.Lfunc_end0:
	.size	bluestein_single_fwd_len728_dim1_sp_op_CI_CI, .Lfunc_end0-bluestein_single_fwd_len728_dim1_sp_op_CI_CI
                                        ; -- End function
	.section	.AMDGPU.csdata,"",@progbits
; Kernel info:
; codeLenInByte = 13292
; NumSgprs: 16
; NumVgprs: 147
; ScratchSize: 0
; MemoryBound: 0
; FloatMode: 240
; IeeeMode: 1
; LDSByteSize: 5824 bytes/workgroup (compile time only)
; SGPRBlocks: 1
; VGPRBlocks: 18
; NumSGPRsForWavesPerEU: 16
; NumVGPRsForWavesPerEU: 147
; Occupancy: 9
; WaveLimiterHint : 1
; COMPUTE_PGM_RSRC2:SCRATCH_EN: 0
; COMPUTE_PGM_RSRC2:USER_SGPR: 2
; COMPUTE_PGM_RSRC2:TRAP_HANDLER: 0
; COMPUTE_PGM_RSRC2:TGID_X_EN: 1
; COMPUTE_PGM_RSRC2:TGID_Y_EN: 0
; COMPUTE_PGM_RSRC2:TGID_Z_EN: 0
; COMPUTE_PGM_RSRC2:TIDIG_COMP_CNT: 0
	.text
	.p2alignl 7, 3214868480
	.fill 96, 4, 3214868480
	.type	__hip_cuid_a081f85e721785c5,@object ; @__hip_cuid_a081f85e721785c5
	.section	.bss,"aw",@nobits
	.globl	__hip_cuid_a081f85e721785c5
__hip_cuid_a081f85e721785c5:
	.byte	0                               ; 0x0
	.size	__hip_cuid_a081f85e721785c5, 1

	.ident	"AMD clang version 19.0.0git (https://github.com/RadeonOpenCompute/llvm-project roc-6.4.0 25133 c7fe45cf4b819c5991fe208aaa96edf142730f1d)"
	.section	".note.GNU-stack","",@progbits
	.addrsig
	.addrsig_sym __hip_cuid_a081f85e721785c5
	.amdgpu_metadata
---
amdhsa.kernels:
  - .args:
      - .actual_access:  read_only
        .address_space:  global
        .offset:         0
        .size:           8
        .value_kind:     global_buffer
      - .actual_access:  read_only
        .address_space:  global
        .offset:         8
        .size:           8
        .value_kind:     global_buffer
      - .actual_access:  read_only
        .address_space:  global
        .offset:         16
        .size:           8
        .value_kind:     global_buffer
      - .actual_access:  read_only
        .address_space:  global
        .offset:         24
        .size:           8
        .value_kind:     global_buffer
      - .actual_access:  read_only
        .address_space:  global
        .offset:         32
        .size:           8
        .value_kind:     global_buffer
      - .offset:         40
        .size:           8
        .value_kind:     by_value
      - .address_space:  global
        .offset:         48
        .size:           8
        .value_kind:     global_buffer
      - .address_space:  global
        .offset:         56
        .size:           8
        .value_kind:     global_buffer
      - .address_space:  global
        .offset:         64
        .size:           8
        .value_kind:     global_buffer
      - .address_space:  global
        .offset:         72
        .size:           8
        .value_kind:     global_buffer
      - .offset:         80
        .size:           4
        .value_kind:     by_value
      - .address_space:  global
        .offset:         88
        .size:           8
        .value_kind:     global_buffer
      - .address_space:  global
        .offset:         96
        .size:           8
        .value_kind:     global_buffer
    .group_segment_fixed_size: 5824
    .kernarg_segment_align: 8
    .kernarg_segment_size: 104
    .language:       OpenCL C
    .language_version:
      - 2
      - 0
    .max_flat_workgroup_size: 104
    .name:           bluestein_single_fwd_len728_dim1_sp_op_CI_CI
    .private_segment_fixed_size: 0
    .sgpr_count:     16
    .sgpr_spill_count: 0
    .symbol:         bluestein_single_fwd_len728_dim1_sp_op_CI_CI.kd
    .uniform_work_group_size: 1
    .uses_dynamic_stack: false
    .vgpr_count:     147
    .vgpr_spill_count: 0
    .wavefront_size: 32
    .workgroup_processor_mode: 1
amdhsa.target:   amdgcn-amd-amdhsa--gfx1201
amdhsa.version:
  - 1
  - 2
...

	.end_amdgpu_metadata
